;; amdgpu-corpus repo=ROCm/aiter kind=harvested arch=n/a opt=n/a

/root/src/amdgpu-assembly/repos/ROCm__aiter/hsa/gfx950/pa/pa_fp16_noquant_gqa8_1tg_4w.co:	file format elf64-amdgpu

Disassembly of section .text:

0000000000002200 <_ZN5aiter27pa_fp16_noquant_gqa8_1tg_4wE>:
	s_and_b32 s1, s1, 0xffff                                   // 000000002200: 8601FF01 0000FFFF
	s_load_dwordx2 s[8:9], s[0:1], 0x0                         // 000000002208: C0060200 00000000
	s_load_dwordx2 s[12:13], s[0:1], 0x10                      // 000000002210: C0060300 00000010
	s_load_dwordx2 s[16:17], s[0:1], 0x20                      // 000000002218: C0060400 00000020
	s_load_dwordx2 s[20:21], s[0:1], 0x30                      // 000000002220: C0060500 00000030
	s_load_dwordx2 s[24:25], s[0:1], 0x40                      // 000000002228: C0060600 00000040
	s_load_dwordx2 s[28:29], s[0:1], 0x50                      // 000000002230: C0060700 00000050
	s_load_dword s64, s[0:1], 0x80                             // 000000002238: C0021000 00000080
	s_load_dword s65, s[0:1], 0x90                             // 000000002240: C0021040 00000090
	s_load_dword s66, s[0:1], 0xa0                             // 000000002248: C0021080 000000A0
	s_load_dword s74, s[0:1], 0xb0                             // 000000002250: C0021280 000000B0
	s_load_dword s68, s[0:1], 0xc0                             // 000000002258: C0021100 000000C0
	s_load_dword s69, s[0:1], 0xd0                             // 000000002260: C0021140 000000D0
	s_load_dword s77, s[0:1], 0xe0                             // 000000002268: C0021340 000000E0
	v_lshrrev_b32_e32 v1, 10, v0                               // 000000002270: 2002008A
	v_lshrrev_b32_e32 v2, 10, v1                               // 000000002274: 2004028A
	v_and_b32_e32 v2, 0x3ff, v2                                // 000000002278: 260404FF 000003FF
	v_and_b32_e32 v1, 0x3ff, v1                                // 000000002280: 260202FF 000003FF
	v_and_b32_e32 v0, 0x3ff, v0                                // 000000002288: 260000FF 000003FF
	v_lshrrev_b32_e32 v3, 6, v0                                // 000000002290: 20060086
	v_and_b32_e32 v0, 63, v0                                   // 000000002294: 260000BF
	s_mov_b32 s2, s2                                           // 000000002298: BE820002
	s_mov_b32 s3, s3                                           // 00000000229C: BE830003
	s_mov_b32 s4, s4                                           // 0000000022A0: BE840004
	v_readfirstlane_b32 s7, v3                                 // 0000000022A4: 7E0E0503
	s_waitcnt lgkmcnt(0)                                       // 0000000022A8: BF8CC07F
	s_mul_i32 s67, 0x100, s77                                  // 0000000022AC: 92434DFF 00000100
	s_mul_i32 s76, 0x100, s77                                  // 0000000022B4: 924C4DFF 00000100
	s_mul_i32 s75, s66, s76                                    // 0000000022BC: 924B4C42
	s_mul_i32 s60, s3, 4                                       // 0000000022C0: 923C8403
	s_and_b32 s29, s29, 0xffff                                 // 0000000022C4: 861DFF1D 0000FFFF
	s_add_u32 s28, s60, s28                                    // 0000000022CC: 801C1C3C
	s_addc_u32 s29, 0, s29                                     // 0000000022D0: 821D1D80
	s_load_dword s72, s[28:29], 0x0                            // 0000000022D4: C002120E 00000000
	s_mov_b32 s10, s76                                         // 0000000022DC: BE8A004C
	s_mov_b32 s14, s67                                         // 0000000022E0: BE8E0043
	s_mul_i32 s60, 4, s65                                      // 0000000022E4: 923C4184
	s_mov_b32 s26, s60                                         // 0000000022E8: BE9A003C
	s_mov_b32 s18, 0x80000000                                  // 0000000022EC: BE9200FF 80000000
	s_mov_b32 s22, 0x80000000                                  // 0000000022F4: BE9600FF 80000000
	s_mov_b32 s11, 0x20000                                     // 0000000022FC: BE8B00FF 00020000
	s_mov_b32 s15, 0x20000                                     // 000000002304: BE8F00FF 00020000
	s_mov_b32 s19, 0x20000                                     // 00000000230C: BE9300FF 00020000
	s_mov_b32 s23, 0x20000                                     // 000000002314: BE9700FF 00020000
	s_mov_b32 s27, 0x20000                                     // 00000000231C: BE9B00FF 00020000
	s_and_b32 s9, s9, 0xffff                                   // 000000002324: 8609FF09 0000FFFF
	s_and_b32 s13, s13, 0xffff                                 // 00000000232C: 860DFF0D 0000FFFF
	s_and_b32 s17, s17, 0xffff                                 // 000000002334: 8611FF11 0000FFFF
	s_and_b32 s21, s21, 0xffff                                 // 00000000233C: 8615FF15 0000FFFF
	s_and_b32 s25, s25, 0xffff                                 // 000000002344: 8619FF19 0000FFFF
	s_or_b32 s9, s9, 0x40000                                   // 00000000234C: 8709FF09 00040000
	s_or_b32 s13, s13, 0x40000                                 // 000000002354: 870DFF0D 00040000
	s_or_b32 s17, s17, 0x40000                                 // 00000000235C: 8711FF11 00040000
	s_or_b32 s21, s21, 0x40000                                 // 000000002364: 8715FF15 00040000
	s_or_b32 s25, s25, 0x40000                                 // 00000000236C: 8719FF19 00040000
	v_accvgpr_write_b32 a255, 0                                // 000000002374: D3D940FF 18000080
	v_mov_b32_e32 v151, 0                                      // 00000000237C: 7F2E0280
	s_mul_i32 s60, s3, s65                                     // 000000002380: 923C4103
	s_mul_i32 s60, s60, 4                                      // 000000002384: 923C843C
	s_add_u32 s24, s60, s24                                    // 000000002388: 8018183C
	s_addc_u32 s25, 0, s25                                     // 00000000238C: 82191980
	s_mov_b32 s56, 64                                          // 000000002390: BEB800C0
	s_waitcnt lgkmcnt(0)                                       // 000000002394: BF8CC07F
	s_add_u32 s73, s72, 15                                     // 000000002398: 80498F48
	s_lshr_b32 s73, s73, 4                                     // 00000000239C: 8F498449
	s_mul_i32 s60, s73, 4                                      // 0000000023A0: 923C8449
	s_mov_b32 s26, s60                                         // 0000000023A4: BE9A003C
	v_and_b32_e32 v39, 3, v0                                   // 0000000023A8: 264E0083
	v_cmp_eq_u32_e64 s[60:61], 0, v39                          // 0000000023AC: D0CA003C 00024E80
	v_and_b32_e32 v38, 12, v0                                  // 0000000023B4: 264C008C
	v_add_u32_e32 v1, s7, v38                                  // 0000000023B8: 68024C07
	v_cndmask_b32_e64 v1, 0, v1, s[60:61]                      // 0000000023BC: D1000001 00F20280
	v_and_b32_e32 v39, 3, v0                                   // 0000000023C4: 264E0083
	v_cmp_eq_u32_e64 s[60:61], 0, v39                          // 0000000023C8: D0CA003C 00024E80
	v_lshrrev_b32_e32 v38, 5, v0                               // 0000000023D0: 204C0085
	v_and_b32_e32 v39, 14, v0                                  // 0000000023D4: 264E008E
	v_add_u32_e32 v38, v39, v38                                // 0000000023D8: 684C4D27
	v_cndmask_b32_e64 v38, v38, 0, s[60:61]                    // 0000000023DC: D1000026 00F10126
	v_add_u32_e32 v1, v1, v38                                  // 0000000023E4: 68024D01
	v_lshlrev_b32_e32 v1, 2, v1                                // 0000000023E8: 24020282
	v_writelane_b32 v1, 56, 7                                  // 0000000023EC: D28A0001 00010EB8
	v_writelane_b32 v1, 56, 23                                 // 0000000023F4: D28A0001 00012EB8
	v_writelane_b32 v1, 60, 39                                 // 0000000023FC: D28A0001 00014EBC
	v_writelane_b32 v1, 60, 55                                 // 000000002404: D28A0001 00016EBC
	buffer_load_dword v16, v1, s[24:27], 0 offen               // 00000000240C: E0501000 80061001
	v_add_u32_e32 v1, s56, v1                                  // 000000002414: 68020238
	buffer_load_dword v17, v1, s[24:27], 0 offen               // 000000002418: E0501000 80061101
	s_cmp_le_u32 s73, 32                                       // 000000002420: BF0BA049
	s_cselect_b32 s56, 0, s56                                  // 000000002424: 85383880
	s_mul_i32 s61, s2, s67                                     // 000000002428: 923D4302
	s_mul_i32 s60, s3, s74                                     // 00000000242C: 923C4A03
	s_add_u32 s60, s60, s61                                    // 000000002430: 803C3D3C
	s_add_u32 s12, s60, s12                                    // 000000002434: 800C0C3C
	s_addc_u32 s13, 0, s13                                     // 000000002438: 820D0D80
	s_mul_i32 s60, s7, 0x420                                   // 00000000243C: 923CFF07 00000420
	s_add_u32 m0, 0, s60                                       // 000000002444: 807C3C80
	s_mul_i32 s60, s7, 0x100                                   // 000000002448: 923CFF07 00000100
	v_lshlrev_b32_e32 v38, 2, v0                               // 000000002450: 244C0082
	v_add_u32_e64 v38, v38, s60                                // 000000002454: D1340026 00007926
	buffer_load_dword v38, s[12:15], 0 offen lds               // 00000000245C: E0511000 80030026
	s_add_u32 m0, m0, 0x100                                    // 000000002464: 807CFF7C 00000100
	v_add_u32_e32 v38, 0x400, v38                              // 00000000246C: 684C4CFF 00000400
	buffer_load_dword v38, s[12:15], 0 offen lds               // 000000002474: E0511000 80030026
	s_add_u32 m0, m0, 0x100                                    // 00000000247C: 807CFF7C 00000100
	v_add_u32_e32 v38, 0x400, v38                              // 000000002484: 684C4CFF 00000400
	s_mul_i32 s60, s7, 0x420                                   // 00000000248C: 923CFF07 00000420
	v_lshlrev_b32_e32 v38, 2, v0                               // 000000002494: 244C0082
	v_add_u32_e64 v38, v38, s60                                // 000000002498: D1340026 00007926
	v_mov_b32_e32 v39, 0                                       // 0000000024A0: 7E4E0280
	ds_write_b32 v38, v39 offset:512                           // 0000000024A4: D81A0200 00002726
	ds_write_b32 v38, v39 offset:768                           // 0000000024AC: D81A0300 00002726
	s_mul_i32 s61, s2, s76                                     // 0000000024B4: 923D4C02
	s_mul_i32 s60, s3, s75                                     // 0000000024B8: 923C4B03
	s_add_u32 s60, s60, s61                                    // 0000000024BC: 803C3D3C
	s_add_u32 s8, s60, s8                                      // 0000000024C0: 8008083C
	s_addc_u32 s9, 0, s9                                       // 0000000024C4: 82090980
	s_mul_i32 s60, s7, 0x100                                   // 0000000024C8: 923CFF07 00000100
	v_lshlrev_b32_e32 v8, 2, v0                                // 0000000024D0: 24100082
	v_add_u32_e64 v8, v8, s60                                  // 0000000024D4: D1340008 00007908
	s_mov_b32 s70, 0                                           // 0000000024DC: BEC60080
	s_and_b32 s71, s72, 0xffffff00                             // 0000000024E0: 8647FF48 FFFFFF00
	v_mov_b32_e32 v51, s68                                     // 0000000024E8: 7E660244
	v_mov_b32_e32 v9, -1                                       // 0000000024EC: 7E1202C1
	s_mov_b32 s52, 0x7060302                                   // 0000000024F0: BEB400FF 07060302
	s_mov_b32 s53, 0x400                                       // 0000000024F8: BEB500FF 00000400
	s_mov_b32 s54, 0x40100                                     // 000000002500: BEB600FF 00040100
	s_mov_b32 s55, 0x4020100                                   // 000000002508: BEB700FF 04020100
	v_mov_b32_dpp v9, v9 row_shl:8 row_mask:0xf bank_mask:0xf bound_ctrl:1// 000000002510: 7E1202FA FF090809
	s_mov_b32 s6, 0x3fb8aa3b                                   // 000000002518: BE8600FF 3FB8AA3B
	v_mov_b32_e32 v14, 0xff800000                              // 000000002520: 7E1C02FF FF800000
	v_mov_b32_e32 v52, 0xff800000                              // 000000002528: 7E6802FF FF800000
	v_mov_b32_e32 v49, 0                                       // 000000002530: 7E620280
	v_mov_b32_e32 v42, 0                                       // 000000002534: 7E540280
	v_mov_b32_e32 v19, 0xffff0000                              // 000000002538: 7E2602FF FFFF0000
	v_mov_b32_e32 v20, 0x7fff0000                              // 000000002540: 7E2802FF 7FFF0000
	v_mov_b32_e32 v21, 0x7fff                                  // 000000002548: 7E2A02FF 00007FFF
	v_add_u32_e32 v1, s56, v1                                  // 000000002550: 68020238
	v_and_b32_e32 v10, 15, v0                                  // 000000002554: 2614008F
	v_lshlrev_b32_e32 v10, 2, v10                              // 000000002558: 24141482
	v_lshlrev_b32_e32 v11, 2, v0                               // 00000000255C: 24160082
	s_mul_i32 s60, 0x100, s7                                   // 000000002560: 923C07FF 00000100
	v_add_u32_e32 v11, s60, v11                                // 000000002568: 6816163C
	v_lshrrev_b32_e32 v38, 4, v0                               // 00000000256C: 204C0084
	v_lshlrev_b32_e32 v39, 6, v38                              // 000000002570: 244E4C86
	v_and_b32_e32 v38, 15, v0                                  // 000000002574: 264C008F
	v_lshlrev_b32_e32 v38, 1, v38                              // 000000002578: 244C4C81
	v_add_u32_e32 v39, v38, v39                                // 00000000257C: 684E4F26
	v_lshlrev_b32_e32 v12, 2, v39                              // 000000002580: 24184E82
	v_lshlrev_b32_e32 v38, 3, v0                               // 000000002584: 244C0083
	s_mul_i32 s60, 0x200, s7                                   // 000000002588: 923C07FF 00000200
	v_add_u32_e64 v13, v38, s60                                // 000000002590: D134000D 00007926
	v_lshlrev_b32_e32 v6, 4, v0                                // 000000002598: 240C0084
	s_mul_i32 s60, s2, s69                                     // 00000000259C: 923C4502
	s_add_u32 s16, s60, s16                                    // 0000000025A0: 8010103C
	s_addc_u32 s17, 0, s17                                     // 0000000025A4: 82111180
	v_and_b32_e32 v38, 15, v0                                  // 0000000025A8: 264C008F
	v_lshlrev_b32_e32 v7, 4, v38                               // 0000000025AC: 240E4C84
	v_and_b32_e32 v38, 31, v0                                  // 0000000025B0: 264C009F
	v_lshrrev_b32_e32 v38, 4, v38                              // 0000000025B4: 204C4C84
	v_mul_i32_i24_e32 v38, 0x800, v38                          // 0000000025B8: 0C4C4CFF 00000800
	v_add_u32_e32 v7, v38, v7                                  // 0000000025C0: 680E0F26
	s_mul_i32 s61, s2, s69                                     // 0000000025C4: 923D4502
	s_mul_i32 s60, s7, 0x100                                   // 0000000025C8: 923CFF07 00000100
	s_add_u32 s60, s60, s61                                    // 0000000025D0: 803C3D3C
	s_add_u32 s20, s60, s20                                    // 0000000025D4: 8014143C
	s_addc_u32 s21, 0, s21                                     // 0000000025D8: 82151580
	s_waitcnt vmcnt(2)                                         // 0000000025DC: BF8C0F72
	v_mul_u32_u24_dpp v38, v16, v51 row_newbcast:0 row_mask:0xf bank_mask:0xf// 0000000025E0: 104C66FA FF015010
	v_mul_u32_u24_dpp v39, v16, v51 row_newbcast:4 row_mask:0xf bank_mask:0xf// 0000000025E8: 104E66FA FF015410
	v_mul_u32_u24_dpp v40, v16, v51 row_newbcast:8 row_mask:0xf bank_mask:0xf// 0000000025F0: 105066FA FF015810
	v_mul_u32_u24_dpp v41, v16, v51 row_newbcast:12 row_mask:0xf bank_mask:0xf// 0000000025F8: 105266FA FF015C10
	v_add_u32_e32 v22, v38, v6                                 // 000000002600: 682C0D26
	v_add_u32_e32 v23, v39, v6                                 // 000000002604: 682E0D27
	v_add_u32_e32 v24, v40, v6                                 // 000000002608: 68300D28
	v_add_u32_e32 v25, v41, v6                                 // 00000000260C: 68320D29
	v_mul_u32_u24_dpp v38, v16, v51 row_newbcast:1 row_mask:0xf bank_mask:0xf// 000000002610: 104C66FA FF015110
	v_mul_u32_u24_dpp v39, v16, v51 row_newbcast:2 row_mask:0xf bank_mask:0xf// 000000002618: 104E66FA FF015210
	v_mul_u32_u24_dpp v40, v16, v51 row_newbcast:5 row_mask:0xf bank_mask:0xf// 000000002620: 105066FA FF015510
	v_mul_u32_u24_dpp v41, v16, v51 row_newbcast:6 row_mask:0xf bank_mask:0xf// 000000002628: 105266FA FF015610
	v_add_u32_e32 v136, v38, v7                                // 000000002630: 69100F26
	v_add_u32_e32 v137, v39, v7                                // 000000002634: 69120F27
	v_add_u32_e32 v138, v40, v7                                // 000000002638: 69140F28
	v_add_u32_e32 v139, v41, v7                                // 00000000263C: 69160F29
	v_mul_u32_u24_dpp v38, v16, v51 row_newbcast:9 row_mask:0xf bank_mask:0xf// 000000002640: 104C66FA FF015910
	v_mul_u32_u24_dpp v39, v16, v51 row_newbcast:10 row_mask:0xf bank_mask:0xf// 000000002648: 104E66FA FF015A10
	v_mul_u32_u24_dpp v40, v16, v51 row_newbcast:13 row_mask:0xf bank_mask:0xf// 000000002650: 105066FA FF015D10
	v_mul_u32_u24_dpp v41, v16, v51 row_newbcast:7 row_mask:0xf bank_mask:0xf// 000000002658: 105266FA FF015710
	v_add_u32_e32 v140, v38, v7                                // 000000002660: 69180F26
	v_add_u32_e32 v141, v39, v7                                // 000000002664: 691A0F27
	v_add_u32_e32 v142, v40, v7                                // 000000002668: 691C0F28
	v_add_u32_e32 v143, v41, v7                                // 00000000266C: 691E0F29
	buffer_load_dwordx4 a[0:3], v22, s[16:19], 0 offen         // 000000002670: E05C1000 80840016
	buffer_load_dwordx4 a[4:7], v22, s[16:19], 0 offen offset:1024// 000000002678: E05C1400 80840416
	buffer_load_dwordx4 a[8:11], v22, s[16:19], 0 offen offset:2048// 000000002680: E05C1800 80840816
	buffer_load_dwordx4 a[12:15], v22, s[16:19], 0 offen offset:3072// 000000002688: E05C1C00 80840C16
	buffer_load_dwordx4 a[16:19], v23, s[16:19], 0 offen       // 000000002690: E05C1000 80841017
	buffer_load_dwordx4 a[20:23], v23, s[16:19], 0 offen offset:1024// 000000002698: E05C1400 80841417
	buffer_load_dwordx4 a[24:27], v23, s[16:19], 0 offen offset:2048// 0000000026A0: E05C1800 80841817
	buffer_load_dwordx4 a[28:31], v23, s[16:19], 0 offen offset:3072// 0000000026A8: E05C1C00 80841C17
	buffer_load_dwordx4 a[32:35], v24, s[16:19], 0 offen       // 0000000026B0: E05C1000 80842018
	buffer_load_dwordx4 a[36:39], v24, s[16:19], 0 offen offset:1024// 0000000026B8: E05C1400 80842418
	buffer_load_dwordx4 a[40:43], v24, s[16:19], 0 offen offset:2048// 0000000026C0: E05C1800 80842818
	buffer_load_dwordx4 a[44:47], v24, s[16:19], 0 offen offset:3072// 0000000026C8: E05C1C00 80842C18
	buffer_load_dwordx4 a[48:51], v25, s[16:19], 0 offen       // 0000000026D0: E05C1000 80843019
	buffer_load_dwordx4 a[52:55], v25, s[16:19], 0 offen offset:1024// 0000000026D8: E05C1400 80843419
	buffer_load_dwordx4 a[56:59], v25, s[16:19], 0 offen offset:2048// 0000000026E0: E05C1800 80843819
	buffer_load_dwordx4 a[60:63], v25, s[16:19], 0 offen offset:3072// 0000000026E8: E05C1C00 80843C19
	buffer_load_dwordx4 a[128:131], v136, s[20:23], 0 offen    // 0000000026F0: E05C1000 80858088
	buffer_load_dwordx4 a[132:135], v137, s[20:23], 0 offen    // 0000000026F8: E05C1000 80858489
	buffer_load_dwordx4 a[136:139], v138, s[20:23], 0 offen    // 000000002700: E05C1000 8085888A
	buffer_load_dwordx4 a[140:143], v139, s[20:23], 0 offen    // 000000002708: E05C1000 80858C8B
	buffer_load_dwordx4 a[144:147], v140, s[20:23], 0 offen    // 000000002710: E05C1000 8085908C
	buffer_load_dwordx4 a[148:151], v141, s[20:23], 0 offen    // 000000002718: E05C1000 8085948D
	buffer_load_dwordx4 a[152:155], v142, s[20:23], 0 offen    // 000000002720: E05C1000 8085988E
	buffer_load_dwordx4 a[156:159], v143, s[20:23], 0 offen    // 000000002728: E05C1000 80859C8F
	buffer_load_dwordx4 a[160:163], v136, s[20:23], 0 offen offset:1024// 000000002730: E05C1400 8085A088
	buffer_load_dwordx4 a[164:167], v137, s[20:23], 0 offen offset:1024// 000000002738: E05C1400 8085A489
	buffer_load_dwordx4 a[168:171], v138, s[20:23], 0 offen offset:1024// 000000002740: E05C1400 8085A88A
	buffer_load_dwordx4 a[172:175], v139, s[20:23], 0 offen offset:1024// 000000002748: E05C1400 8085AC8B
	buffer_load_dwordx4 a[176:179], v140, s[20:23], 0 offen offset:1024// 000000002750: E05C1400 8085B08C
	buffer_load_dwordx4 a[180:183], v141, s[20:23], 0 offen offset:1024// 000000002758: E05C1400 8085B48D
	buffer_load_dwordx4 a[184:187], v142, s[20:23], 0 offen offset:1024// 000000002760: E05C1400 8085B88E
	buffer_load_dwordx4 a[188:191], v143, s[20:23], 0 offen offset:1024// 000000002768: E05C1400 8085BC8F
	v_lshrrev_b32_e32 v38, 4, v0                               // 000000002770: 204C0084
	v_lshlrev_b32_e32 v39, 2, v38                              // 000000002774: 244E4C82
	v_and_b32_e32 v38, 15, v0                                  // 000000002778: 264C008F
	v_lshrrev_b32_e32 v40, 2, v38                              // 00000000277C: 20504C82
	v_lshlrev_b32_e32 v40, 6, v40                              // 000000002780: 24505086
	v_add_u32_e32 v39, v40, v39                                // 000000002784: 684E4F28
	v_and_b32_e32 v38, 3, v0                                   // 000000002788: 264C0083
	v_mul_i32_i24_e32 v40, 0x108, v38                          // 00000000278C: 0C504CFF 00000108
	v_add_u32_e32 v39, v40, v39                                // 000000002794: 684E4F28
	v_lshlrev_b32_e32 v4, 2, v39                               // 000000002798: 24084E82
	s_waitcnt vmcnt(32) lgkmcnt(0)                             // 00000000279C: BF8C8070
	s_barrier                                                  // 0000000027A0: BF8A0000
	ds_read_b128 v[80:83], v4                                  // 0000000027A4: D9FE0000 50000004
	ds_read_b128 v[84:87], v4 offset:64                        // 0000000027AC: D9FE0040 54000004
	ds_read_b128 v[88:91], v4 offset:128                       // 0000000027B4: D9FE0080 58000004
	ds_read_b128 v[92:95], v4 offset:192                       // 0000000027BC: D9FE00C0 5C000004
	v_mov_b32_e32 v128, 0                                      // 0000000027C4: 7F000280
	v_mov_b32_e32 v129, 0                                      // 0000000027C8: 7F020280
	v_mov_b32_e32 v130, 0                                      // 0000000027CC: 7F040280
	v_mov_b32_e32 v131, 0                                      // 0000000027D0: 7F060280
	v_mov_b32_e32 v132, 0                                      // 0000000027D4: 7F080280
	v_mov_b32_e32 v133, 0                                      // 0000000027D8: 7F0A0280
	v_mov_b32_e32 v134, 0                                      // 0000000027DC: 7F0C0280
	v_mov_b32_e32 v135, 0                                      // 0000000027E0: 7F0E0280
	s_waitcnt vmcnt(16) lgkmcnt(0)                             // 0000000027E4: BF8C4070
	s_barrier                                                  // 0000000027E8: BF8A0000
	v_mul_u32_u24_dpp v38, v17, v51 row_newbcast:0 row_mask:0xf bank_mask:0xf// 0000000027EC: 104C66FA FF015011
	v_mul_u32_u24_dpp v39, v17, v51 row_newbcast:4 row_mask:0xf bank_mask:0xf// 0000000027F4: 104E66FA FF015411
	v_mul_u32_u24_dpp v40, v17, v51 row_newbcast:8 row_mask:0xf bank_mask:0xf// 0000000027FC: 105066FA FF015811
	v_mul_u32_u24_dpp v41, v17, v51 row_newbcast:12 row_mask:0xf bank_mask:0xf// 000000002804: 105266FA FF015C11
	v_add_u32_e32 v26, v38, v6                                 // 00000000280C: 68340D26
	v_add_u32_e32 v27, v39, v6                                 // 000000002810: 68360D27
	v_add_u32_e32 v28, v40, v6                                 // 000000002814: 68380D28
	v_add_u32_e32 v29, v41, v6                                 // 000000002818: 683A0D29
	v_mul_u32_u24_dpp v38, v17, v51 row_newbcast:1 row_mask:0xf bank_mask:0xf// 00000000281C: 104C66FA FF015111
	v_mul_u32_u24_dpp v39, v17, v51 row_newbcast:2 row_mask:0xf bank_mask:0xf// 000000002824: 104E66FA FF015211
	v_mul_u32_u24_dpp v40, v17, v51 row_newbcast:5 row_mask:0xf bank_mask:0xf// 00000000282C: 105066FA FF015511
	v_mul_u32_u24_dpp v41, v17, v51 row_newbcast:6 row_mask:0xf bank_mask:0xf// 000000002834: 105266FA FF015611
	v_add_u32_e32 v144, v38, v7                                // 00000000283C: 69200F26
	v_add_u32_e32 v145, v39, v7                                // 000000002840: 69220F27
	v_add_u32_e32 v146, v40, v7                                // 000000002844: 69240F28
	v_add_u32_e32 v147, v41, v7                                // 000000002848: 69260F29
	v_mul_u32_u24_dpp v38, v17, v51 row_newbcast:9 row_mask:0xf bank_mask:0xf// 00000000284C: 104C66FA FF015911
	v_mul_u32_u24_dpp v39, v17, v51 row_newbcast:10 row_mask:0xf bank_mask:0xf// 000000002854: 104E66FA FF015A11
	v_mul_u32_u24_dpp v40, v17, v51 row_newbcast:13 row_mask:0xf bank_mask:0xf// 00000000285C: 105066FA FF015D11
	v_mul_u32_u24_dpp v41, v17, v51 row_newbcast:7 row_mask:0xf bank_mask:0xf// 000000002864: 105266FA FF015711
	v_add_u32_e32 v148, v38, v7                                // 00000000286C: 69280F26
	v_add_u32_e32 v149, v39, v7                                // 000000002870: 692A0F27
	v_add_u32_e32 v150, v40, v7                                // 000000002874: 692C0F28
	v_add_u32_e32 v151, v41, v7                                // 000000002878: 692E0F29
	s_cmp_lt_u32 s73, 16                                       // 00000000287C: BF0A9049
	s_cbranch_scc1 label_0A50                                  // 000000002880: BF8508AE
	s_cmp_lt_i32 s7, 2                                         // 000000002884: BF048207
	s_cbranch_scc0 label_053B                                  // 000000002888: BF840398

000000000000288c <label_01A3>:
	s_waitcnt vmcnt(16) lgkmcnt(0)                             // 00000000288C: BF8C4070
	v_mfma_f32_16x16x16_f16 v[96:99], a[0:1], v[80:81], 0      // 000000002890: D3CD0060 0A02A100
	v_mfma_f32_16x16x16_f16 v[96:99], a[2:3], v[82:83], v[96:99]// 000000002898: D3CD0060 0D82A502
	buffer_load_dwordx4 a[64:67], v26, s[16:19], 0 offen       // 0000000028A0: E05C1000 8084401A
	v_mfma_f32_16x16x16_f16 v[96:99], a[4:5], v[84:85], v[96:99]// 0000000028A8: D3CD0060 0D82A904
	v_mfma_f32_16x16x16_f16 v[96:99], a[6:7], v[86:87], v[96:99]// 0000000028B0: D3CD0060 0D82AD06
	buffer_load_dword v16, v1, s[24:27], 0 offen               // 0000000028B8: E0501000 80061001
	v_mfma_f32_16x16x16_f16 v[96:99], a[8:9], v[88:89], v[96:99]// 0000000028C0: D3CD0060 0D82B108
	v_mfma_f32_16x16x16_f16 v[96:99], a[10:11], v[90:91], v[96:99]// 0000000028C8: D3CD0060 0D82B50A
	buffer_load_dwordx4 a[68:71], v26, s[16:19], 0 offen offset:1024// 0000000028D0: E05C1400 8084441A
	v_mfma_f32_16x16x16_f16 v[96:99], a[12:13], v[92:93], v[96:99]// 0000000028D8: D3CD0060 0D82B90C
	v_mfma_f32_16x16x16_f16 v[96:99], a[14:15], v[94:95], v[96:99]// 0000000028E0: D3CD0060 0D82BD0E
	v_mfma_f32_16x16x16_f16 v[100:103], a[16:17], v[80:81], 0  // 0000000028E8: D3CD0064 0A02A110
	v_mfma_f32_16x16x16_f16 v[100:103], a[18:19], v[82:83], v[100:103]// 0000000028F0: D3CD0064 0D92A512
	buffer_load_dwordx4 a[72:75], v26, s[16:19], 0 offen offset:2048// 0000000028F8: E05C1800 8084481A
	v_mfma_f32_16x16x16_f16 v[100:103], a[20:21], v[84:85], v[100:103]// 000000002900: D3CD0064 0D92A914
	v_mfma_f32_16x16x16_f16 v[100:103], a[22:23], v[86:87], v[100:103]// 000000002908: D3CD0064 0D92AD16
	v_mfma_f32_16x16x16_f16 v[100:103], a[24:25], v[88:89], v[100:103]// 000000002910: D3CD0064 0D92B118
	v_mfma_f32_16x16x16_f16 v[100:103], a[26:27], v[90:91], v[100:103]// 000000002918: D3CD0064 0D92B51A
	buffer_load_dwordx4 a[76:79], v26, s[16:19], 0 offen offset:3072// 000000002920: E05C1C00 80844C1A
	v_mfma_f32_16x16x16_f16 v[100:103], a[28:29], v[92:93], v[100:103]// 000000002928: D3CD0064 0D92B91C
	v_mfma_f32_16x16x16_f16 v[100:103], a[30:31], v[94:95], v[100:103]// 000000002930: D3CD0064 0D92BD1E
	v_mfma_f32_16x16x16_f16 v[104:107], a[32:33], v[80:81], 0  // 000000002938: D3CD0068 0A02A120
	v_mfma_f32_16x16x16_f16 v[104:107], a[34:35], v[82:83], v[104:107]// 000000002940: D3CD0068 0DA2A522
	buffer_load_dwordx4 a[80:83], v27, s[16:19], 0 offen       // 000000002948: E05C1000 8084501B
	v_mfma_f32_16x16x16_f16 v[104:107], a[36:37], v[84:85], v[104:107]// 000000002950: D3CD0068 0DA2A924
	v_mfma_f32_16x16x16_f16 v[104:107], a[38:39], v[86:87], v[104:107]// 000000002958: D3CD0068 0DA2AD26
	v_mfma_f32_16x16x16_f16 v[104:107], a[40:41], v[88:89], v[104:107]// 000000002960: D3CD0068 0DA2B128
	v_mfma_f32_16x16x16_f16 v[104:107], a[42:43], v[90:91], v[104:107]// 000000002968: D3CD0068 0DA2B52A
	buffer_load_dwordx4 a[84:87], v27, s[16:19], 0 offen offset:1024// 000000002970: E05C1400 8084541B
	v_mfma_f32_16x16x16_f16 v[104:107], a[44:45], v[92:93], v[104:107]// 000000002978: D3CD0068 0DA2B92C
	v_mfma_f32_16x16x16_f16 v[104:107], a[46:47], v[94:95], v[104:107]// 000000002980: D3CD0068 0DA2BD2E
	v_mfma_f32_16x16x16_f16 v[108:111], a[48:49], v[80:81], 0  // 000000002988: D3CD006C 0A02A130
	v_mfma_f32_16x16x16_f16 v[108:111], a[50:51], v[82:83], v[108:111]// 000000002990: D3CD006C 0DB2A532
	buffer_load_dwordx4 a[88:91], v27, s[16:19], 0 offen offset:2048// 000000002998: E05C1800 8084581B
	v_mfma_f32_16x16x16_f16 v[108:111], a[52:53], v[84:85], v[108:111]// 0000000029A0: D3CD006C 0DB2A934
	v_mfma_f32_16x16x16_f16 v[108:111], a[54:55], v[86:87], v[108:111]// 0000000029A8: D3CD006C 0DB2AD36
	v_mfma_f32_16x16x16_f16 v[108:111], a[56:57], v[88:89], v[108:111]// 0000000029B0: D3CD006C 0DB2B138
	v_mfma_f32_16x16x16_f16 v[108:111], a[58:59], v[90:91], v[108:111]// 0000000029B8: D3CD006C 0DB2B53A
	buffer_load_dwordx4 a[92:95], v27, s[16:19], 0 offen offset:3072// 0000000029C0: E05C1C00 80845C1B
	v_mfma_f32_16x16x16_f16 v[108:111], a[60:61], v[92:93], v[108:111]// 0000000029C8: D3CD006C 0DB2B93C
	v_mfma_f32_16x16x16_f16 v[108:111], a[62:63], v[94:95], v[108:111]// 0000000029D0: D3CD006C 0DB2BD3E
	buffer_load_dwordx4 a[96:99], v28, s[16:19], 0 offen       // 0000000029D8: E05C1000 8084601C
	s_nop 8                                                    // 0000000029E0: BF800008
	v_or_b32_dpp v96, v104, v96 row_shr:8 row_mask:0xf bank_mask:0xf bound_ctrl:1// 0000000029E4: 28C0C0FA FF091868
	v_or_b32_dpp v97, v105, v97 row_shr:8 row_mask:0xf bank_mask:0xf bound_ctrl:1// 0000000029EC: 28C2C2FA FF091869
	v_or_b32_dpp v98, v106, v98 row_shr:8 row_mask:0xf bank_mask:0xf bound_ctrl:1// 0000000029F4: 28C4C4FA FF09186A
	v_or_b32_dpp v99, v107, v99 row_shr:8 row_mask:0xf bank_mask:0xf bound_ctrl:1// 0000000029FC: 28C6C6FA FF09186B
	v_or_b32_dpp v100, v108, v100 row_shr:8 row_mask:0xf bank_mask:0xf bound_ctrl:1// 000000002A04: 28C8C8FA FF09186C
	v_or_b32_dpp v101, v109, v101 row_shr:8 row_mask:0xf bank_mask:0xf bound_ctrl:1// 000000002A0C: 28CACAFA FF09186D
	v_or_b32_dpp v102, v110, v102 row_shr:8 row_mask:0xf bank_mask:0xf bound_ctrl:1// 000000002A14: 28CCCCFA FF09186E
	v_or_b32_dpp v103, v111, v103 row_shr:8 row_mask:0xf bank_mask:0xf bound_ctrl:1// 000000002A1C: 28CECEFA FF09186F
	buffer_load_dwordx4 a[100:103], v28, s[16:19], 0 offen offset:1024// 000000002A24: E05C1400 8084641C
	v_mov_b32_e32 v48, v96                                     // 000000002A2C: 7E600360
	v_max3_f32 v48, v96, v97, v48                              // 000000002A30: D1D30030 04C2C360
	v_max3_f32 v48, v98, v99, v48                              // 000000002A38: D1D30030 04C2C762
	v_max3_f32 v48, v100, v101, v48                            // 000000002A40: D1D30030 04C2CB64
	v_max3_f32 v48, v102, v103, v48                            // 000000002A48: D1D30030 04C2CF66
	ds_write_b32 v11, v48 offset:4224                          // 000000002A50: D81A1080 0000300B
	buffer_load_dwordx4 a[104:107], v28, s[16:19], 0 offen offset:2048// 000000002A58: E05C1800 8084681C
	s_waitcnt lgkmcnt(0)                                       // 000000002A60: BF8CC07F
	s_barrier                                                  // 000000002A64: BF8A0000
	ds_read_b32 v64, v10 offset:4224                           // 000000002A68: D86C1080 4000000A
	buffer_load_dwordx4 a[108:111], v28, s[16:19], 0 offen offset:3072// 000000002A70: E05C1C00 80846C1C
	ds_read_b32 v65, v10 offset:4288                           // 000000002A78: D86C10C0 4100000A
	ds_read_b32 v66, v10 offset:4352                           // 000000002A80: D86C1100 4200000A
	ds_read_b32 v67, v10 offset:4416                           // 000000002A88: D86C1140 4300000A
	ds_read_b32 v68, v10 offset:4480                           // 000000002A90: D86C1180 4400000A
	ds_read_b32 v69, v10 offset:4544                           // 000000002A98: D86C11C0 4500000A
	ds_read_b32 v70, v10 offset:4608                           // 000000002AA0: D86C1200 4600000A
	ds_read_b32 v71, v10 offset:4672                           // 000000002AA8: D86C1240 4700000A
	ds_read_b32 v72, v10 offset:4736                           // 000000002AB0: D86C1280 4800000A
	buffer_load_dwordx4 a[112:115], v29, s[16:19], 0 offen     // 000000002AB8: E05C1000 8084701D
	ds_read_b32 v73, v10 offset:4800                           // 000000002AC0: D86C12C0 4900000A
	ds_read_b32 v74, v10 offset:4864                           // 000000002AC8: D86C1300 4A00000A
	ds_read_b32 v75, v10 offset:4928                           // 000000002AD0: D86C1340 4B00000A
	ds_read_b32 v76, v10 offset:4992                           // 000000002AD8: D86C1380 4C00000A
	ds_read_b32 v77, v10 offset:5056                           // 000000002AE0: D86C13C0 4D00000A
	ds_read_b32 v78, v10 offset:5120                           // 000000002AE8: D86C1400 4E00000A
	ds_read_b32 v79, v10 offset:5184                           // 000000002AF0: D86C1440 4F00000A
	buffer_load_dwordx4 a[116:119], v29, s[16:19], 0 offen offset:1024// 000000002AF8: E05C1400 8084741D
	buffer_load_dwordx4 a[120:123], v29, s[16:19], 0 offen offset:2048// 000000002B00: E05C1800 8084781D
	s_waitcnt lgkmcnt(0)                                       // 000000002B08: BF8CC07F
	v_max3_f32 v48, v64, v65, v48                              // 000000002B0C: D1D30030 04C28340
	v_max3_f32 v48, v66, v67, v48                              // 000000002B14: D1D30030 04C28742
	v_max3_f32 v48, v68, v69, v48                              // 000000002B1C: D1D30030 04C28B44
	v_max3_f32 v48, v70, v71, v48                              // 000000002B24: D1D30030 04C28F46
	v_max3_f32 v48, v72, v73, v48                              // 000000002B2C: D1D30030 04C29348
	v_max3_f32 v48, v74, v75, v48                              // 000000002B34: D1D30030 04C2974A
	v_max3_f32 v48, v76, v77, v48                              // 000000002B3C: D1D30030 04C29B4C
	v_max3_f32 v48, v78, v79, v48                              // 000000002B44: D1D30030 04C29F4E
	buffer_load_dwordx4 a[124:127], v29, s[16:19], 0 offen offset:3072// 000000002B4C: E05C1C00 80847C1D
	v_cmp_eq_u32_e64 s[40:41], v52, v14                        // 000000002B54: D0CA0028 00021D34
	s_nop 1                                                    // 000000002B5C: BF800001
	v_mov_b32_dpp v38, v48 row_ror:8 row_mask:0xf bank_mask:0xf// 000000002B60: 7E4C02FA FF012830
	v_max_f32_e32 v48, v48, v38                                // 000000002B68: 16604D30
	v_max_f32_e32 v15, v48, v14                                // 000000002B6C: 161E1D30
	v_sub_f32_e32 v49, v14, v15                                // 000000002B70: 04621F0E
	v_cndmask_b32_e64 v49, v49, 0, s[40:41]                    // 000000002B74: D1000031 00A10131
	v_mov_b32_e32 v14, v15                                     // 000000002B7C: 7E1C030F
	v_mul_f32_e32 v50, s64, v15                                // 000000002B80: 0A641E40
	v_mul_f32_e32 v49, s64, v49                                // 000000002B84: 0A626240
	v_exp_f32_e32 v49, v49                                     // 000000002B88: 7E624131
	buffer_load_dwordx4 a[192:195], v144, s[20:23], 0 offen    // 000000002B8C: E05C1000 8085C090
	v_fma_f32 v96, v96, s64, -v50                              // 000000002B94: D1CB0060 84C88160
	v_fma_f32 v97, v97, s64, -v50                              // 000000002B9C: D1CB0061 84C88161
	v_fma_f32 v98, v98, s64, -v50                              // 000000002BA4: D1CB0062 84C88162
	v_fma_f32 v99, v99, s64, -v50                              // 000000002BAC: D1CB0063 84C88163
	v_fma_f32 v100, v100, s64, -v50                            // 000000002BB4: D1CB0064 84C88164
	v_fma_f32 v101, v101, s64, -v50                            // 000000002BBC: D1CB0065 84C88165
	v_fma_f32 v102, v102, s64, -v50                            // 000000002BC4: D1CB0066 84C88166
	v_fma_f32 v103, v103, s64, -v50                            // 000000002BCC: D1CB0067 84C88167
	v_exp_f32_e32 v96, v96                                     // 000000002BD4: 7EC04160
	v_exp_f32_e32 v97, v97                                     // 000000002BD8: 7EC24161
	v_exp_f32_e32 v98, v98                                     // 000000002BDC: 7EC44162
	v_exp_f32_e32 v99, v99                                     // 000000002BE0: 7EC64163
	v_exp_f32_e32 v100, v100                                   // 000000002BE4: 7EC84164
	v_exp_f32_e32 v101, v101                                   // 000000002BE8: 7ECA4165
	v_exp_f32_e32 v102, v102                                   // 000000002BEC: 7ECC4166
	v_exp_f32_e32 v103, v103                                   // 000000002BF0: 7ECE4167
	buffer_load_dwordx4 a[196:199], v145, s[20:23], 0 offen    // 000000002BF4: E05C1000 8085C491
	v_mul_f32_e32 v42, v49, v42                                // 000000002BFC: 0A545531
	v_mov_b32_e32 v43, v96                                     // 000000002C00: 7E560360
	v_add_f32_e32 v43, v97, v43                                // 000000002C04: 02565761
	v_add_f32_e32 v43, v98, v43                                // 000000002C08: 02565762
	v_add_f32_e32 v43, v99, v43                                // 000000002C0C: 02565763
	v_add_f32_e32 v43, v100, v43                               // 000000002C10: 02565764
	v_add_f32_e32 v43, v101, v43                               // 000000002C14: 02565765
	v_add_f32_e32 v43, v102, v43                               // 000000002C18: 02565766
	v_add_f32_e32 v43, v103, v43                               // 000000002C1C: 02565767
	v_add_f32_e32 v42, v43, v42                                // 000000002C20: 0254552B
	buffer_load_dwordx4 a[200:203], v146, s[20:23], 0 offen    // 000000002C24: E05C1000 8085C892
	v_cvt_pkrtz_f16_f32 v38, v96, v97                          // 000000002C2C: D2960026 0002C360
	v_mov_b32_e32 v96, v38                                     // 000000002C34: 7EC00326
	v_cvt_pkrtz_f16_f32 v38, v98, v99                          // 000000002C38: D2960026 0002C762
	v_mov_b32_e32 v97, v38                                     // 000000002C40: 7EC20326
	v_cvt_pkrtz_f16_f32 v38, v100, v101                        // 000000002C44: D2960026 0002CB64
	v_mov_b32_e32 v98, v38                                     // 000000002C4C: 7EC40326
	v_cvt_pkrtz_f16_f32 v38, v102, v103                        // 000000002C50: D2960026 0002CF66
	v_mov_b32_e32 v99, v38                                     // 000000002C58: 7EC60326
	buffer_load_dwordx4 a[204:207], v147, s[20:23], 0 offen    // 000000002C5C: E05C1000 8085CC93
	buffer_load_dwordx4 a[208:211], v148, s[20:23], 0 offen    // 000000002C64: E05C1000 8085D094
	ds_write_b64 v13, v[96:97] offset:5248                     // 000000002C6C: D89A1480 0000600D
	ds_write_b64 v13, v[98:99] offset:7296                     // 000000002C74: D89A1C80 0000620D
	buffer_load_dwordx4 a[212:215], v149, s[20:23], 0 offen    // 000000002C7C: E05C1000 8085D495
	s_waitcnt lgkmcnt(0)                                       // 000000002C84: BF8CC07F
	s_barrier                                                  // 000000002C88: BF8A0000
	ds_read_b64 v[96:97], v12 offset:5248                      // 000000002C8C: D8EC1480 6000000C
	ds_read_b64 v[98:99], v12 offset:5376                      // 000000002C94: D8EC1500 6200000C
	ds_read_b64 v[100:101], v12 offset:6272                    // 000000002C9C: D8EC1880 6400000C
	ds_read_b64 v[102:103], v12 offset:6400                    // 000000002CA4: D8EC1900 6600000C
	ds_read_b64 v[104:105], v12 offset:7296                    // 000000002CAC: D8EC1C80 6800000C
	ds_read_b64 v[106:107], v12 offset:7424                    // 000000002CB4: D8EC1D00 6A00000C
	ds_read_b64 v[108:109], v12 offset:8320                    // 000000002CBC: D8EC2080 6C00000C
	ds_read_b64 v[110:111], v12 offset:8448                    // 000000002CC4: D8EC2100 6E00000C
	buffer_load_dwordx4 a[216:219], v150, s[20:23], 0 offen    // 000000002CCC: E05C1000 8085D896
	s_waitcnt lgkmcnt(0)                                       // 000000002CD4: BF8CC07F
	v_mov_b32_dpp v112, v96 row_shl:8 row_mask:0xf bank_mask:0xf bound_ctrl:1// 000000002CD8: 7EE002FA FF090860
	v_and_b32_e32 v96, v96, v9                                 // 000000002CE0: 26C01360
	v_mov_b32_dpp v113, v97 row_shl:8 row_mask:0xf bank_mask:0xf bound_ctrl:1// 000000002CE4: 7EE202FA FF090861
	v_and_b32_e32 v97, v97, v9                                 // 000000002CEC: 26C21361
	v_mov_b32_dpp v114, v98 row_shl:8 row_mask:0xf bank_mask:0xf bound_ctrl:1// 000000002CF0: 7EE402FA FF090862
	v_and_b32_e32 v98, v98, v9                                 // 000000002CF8: 26C41362
	v_mov_b32_dpp v115, v99 row_shl:8 row_mask:0xf bank_mask:0xf bound_ctrl:1// 000000002CFC: 7EE602FA FF090863
	v_and_b32_e32 v99, v99, v9                                 // 000000002D04: 26C61363
	v_mov_b32_dpp v116, v100 row_shl:8 row_mask:0xf bank_mask:0xf bound_ctrl:1// 000000002D08: 7EE802FA FF090864
	v_and_b32_e32 v100, v100, v9                               // 000000002D10: 26C81364
	v_mov_b32_dpp v117, v101 row_shl:8 row_mask:0xf bank_mask:0xf bound_ctrl:1// 000000002D14: 7EEA02FA FF090865
	v_and_b32_e32 v101, v101, v9                               // 000000002D1C: 26CA1365
	v_mov_b32_dpp v118, v102 row_shl:8 row_mask:0xf bank_mask:0xf bound_ctrl:1// 000000002D20: 7EEC02FA FF090866
	v_and_b32_e32 v102, v102, v9                               // 000000002D28: 26CC1366
	v_mov_b32_dpp v119, v103 row_shl:8 row_mask:0xf bank_mask:0xf bound_ctrl:1// 000000002D2C: 7EEE02FA FF090867
	v_and_b32_e32 v103, v103, v9                               // 000000002D34: 26CE1367
	v_mov_b32_dpp v120, v104 row_shl:8 row_mask:0xf bank_mask:0xf bound_ctrl:1// 000000002D38: 7EF002FA FF090868
	v_and_b32_e32 v104, v104, v9                               // 000000002D40: 26D01368
	v_mov_b32_dpp v121, v105 row_shl:8 row_mask:0xf bank_mask:0xf bound_ctrl:1// 000000002D44: 7EF202FA FF090869
	v_and_b32_e32 v105, v105, v9                               // 000000002D4C: 26D21369
	v_mov_b32_dpp v122, v106 row_shl:8 row_mask:0xf bank_mask:0xf bound_ctrl:1// 000000002D50: 7EF402FA FF09086A
	v_and_b32_e32 v106, v106, v9                               // 000000002D58: 26D4136A
	v_mov_b32_dpp v123, v107 row_shl:8 row_mask:0xf bank_mask:0xf bound_ctrl:1// 000000002D5C: 7EF602FA FF09086B
	v_and_b32_e32 v107, v107, v9                               // 000000002D64: 26D6136B
	v_mov_b32_dpp v124, v108 row_shl:8 row_mask:0xf bank_mask:0xf bound_ctrl:1// 000000002D68: 7EF802FA FF09086C
	v_and_b32_e32 v108, v108, v9                               // 000000002D70: 26D8136C
	v_mov_b32_dpp v125, v109 row_shl:8 row_mask:0xf bank_mask:0xf bound_ctrl:1// 000000002D74: 7EFA02FA FF09086D
	v_and_b32_e32 v109, v109, v9                               // 000000002D7C: 26DA136D
	v_mov_b32_dpp v126, v110 row_shl:8 row_mask:0xf bank_mask:0xf bound_ctrl:1// 000000002D80: 7EFC02FA FF09086E
	v_and_b32_e32 v110, v110, v9                               // 000000002D88: 26DC136E
	v_mov_b32_dpp v127, v111 row_shl:8 row_mask:0xf bank_mask:0xf bound_ctrl:1// 000000002D8C: 7EFE02FA FF09086F
	v_and_b32_e32 v111, v111, v9                               // 000000002D94: 26DE136F
	buffer_load_dwordx4 a[220:223], v151, s[20:23], 0 offen    // 000000002D98: E05C1000 8085DC97
	v_mul_f32_e32 v128, v49, v128                              // 000000002DA0: 0B010131
	v_mul_f32_e32 v129, v49, v129                              // 000000002DA4: 0B030331
	v_mul_f32_e32 v130, v49, v130                              // 000000002DA8: 0B050531
	v_mul_f32_e32 v131, v49, v131                              // 000000002DAC: 0B070731
	v_mul_f32_e32 v132, v49, v132                              // 000000002DB0: 0B090931
	v_mul_f32_e32 v133, v49, v133                              // 000000002DB4: 0B0B0B31
	v_mul_f32_e32 v134, v49, v134                              // 000000002DB8: 0B0D0D31
	v_mul_f32_e32 v135, v49, v135                              // 000000002DBC: 0B0F0F31
	s_waitcnt vmcnt(24)                                        // 000000002DC0: BF8C4F78
	v_mfma_f32_16x16x16_f16 v[128:131], a[128:129], v[96:97], v[128:131]// 000000002DC4: D3CD0080 0E02C180
	v_mfma_f32_16x16x16_f16 v[128:131], a[130:131], v[98:99], v[128:131]// 000000002DCC: D3CD0080 0E02C582
	buffer_load_dwordx4 a[224:227], v144, s[20:23], 0 offen offset:1024// 000000002DD4: E05C1400 8085E090
	v_mfma_f32_16x16x16_f16 v[128:131], a[132:133], v[100:101], v[128:131]// 000000002DDC: D3CD0080 0E02C984
	v_mfma_f32_16x16x16_f16 v[128:131], a[134:135], v[102:103], v[128:131]// 000000002DE4: D3CD0080 0E02CD86
	v_mfma_f32_16x16x16_f16 v[128:131], a[136:137], v[104:105], v[128:131]// 000000002DEC: D3CD0080 0E02D188
	v_mfma_f32_16x16x16_f16 v[128:131], a[138:139], v[106:107], v[128:131]// 000000002DF4: D3CD0080 0E02D58A
	buffer_load_dwordx4 a[228:231], v145, s[20:23], 0 offen offset:1024// 000000002DFC: E05C1400 8085E491
	v_mfma_f32_16x16x16_f16 v[128:131], a[140:141], v[108:109], v[128:131]// 000000002E04: D3CD0080 0E02D98C
	v_mfma_f32_16x16x16_f16 v[128:131], a[142:143], v[110:111], v[128:131]// 000000002E0C: D3CD0080 0E02DD8E
	v_mfma_f32_16x16x16_f16 v[128:131], a[144:145], v[112:113], v[128:131]// 000000002E14: D3CD0080 0E02E190
	v_mfma_f32_16x16x16_f16 v[128:131], a[146:147], v[114:115], v[128:131]// 000000002E1C: D3CD0080 0E02E592
	buffer_load_dwordx4 a[232:235], v146, s[20:23], 0 offen offset:1024// 000000002E24: E05C1400 8085E892
	v_mfma_f32_16x16x16_f16 v[128:131], a[148:149], v[116:117], v[128:131]// 000000002E2C: D3CD0080 0E02E994
	v_mfma_f32_16x16x16_f16 v[128:131], a[150:151], v[118:119], v[128:131]// 000000002E34: D3CD0080 0E02ED96
	v_mfma_f32_16x16x16_f16 v[128:131], a[152:153], v[120:121], v[128:131]// 000000002E3C: D3CD0080 0E02F198
	v_mfma_f32_16x16x16_f16 v[128:131], a[154:155], v[122:123], v[128:131]// 000000002E44: D3CD0080 0E02F59A
	buffer_load_dwordx4 a[236:239], v147, s[20:23], 0 offen offset:1024// 000000002E4C: E05C1400 8085EC93
	v_mfma_f32_16x16x16_f16 v[128:131], a[156:157], v[124:125], v[128:131]// 000000002E54: D3CD0080 0E02F99C
	v_mfma_f32_16x16x16_f16 v[128:131], a[158:159], v[126:127], v[128:131]// 000000002E5C: D3CD0080 0E02FD9E
	v_mfma_f32_16x16x16_f16 v[132:135], a[160:161], v[96:97], v[132:135]// 000000002E64: D3CD0084 0E12C1A0
	v_mfma_f32_16x16x16_f16 v[132:135], a[162:163], v[98:99], v[132:135]// 000000002E6C: D3CD0084 0E12C5A2
	buffer_load_dwordx4 a[240:243], v148, s[20:23], 0 offen offset:1024// 000000002E74: E05C1400 8085F094
	v_mfma_f32_16x16x16_f16 v[132:135], a[164:165], v[100:101], v[132:135]// 000000002E7C: D3CD0084 0E12C9A4
	v_mfma_f32_16x16x16_f16 v[132:135], a[166:167], v[102:103], v[132:135]// 000000002E84: D3CD0084 0E12CDA6
	v_mfma_f32_16x16x16_f16 v[132:135], a[168:169], v[104:105], v[132:135]// 000000002E8C: D3CD0084 0E12D1A8
	v_mfma_f32_16x16x16_f16 v[132:135], a[170:171], v[106:107], v[132:135]// 000000002E94: D3CD0084 0E12D5AA
	buffer_load_dwordx4 a[244:247], v149, s[20:23], 0 offen offset:1024// 000000002E9C: E05C1400 8085F495
	v_mfma_f32_16x16x16_f16 v[132:135], a[172:173], v[108:109], v[132:135]// 000000002EA4: D3CD0084 0E12D9AC
	v_mfma_f32_16x16x16_f16 v[132:135], a[174:175], v[110:111], v[132:135]// 000000002EAC: D3CD0084 0E12DDAE
	v_mfma_f32_16x16x16_f16 v[132:135], a[176:177], v[112:113], v[132:135]// 000000002EB4: D3CD0084 0E12E1B0
	v_mfma_f32_16x16x16_f16 v[132:135], a[178:179], v[114:115], v[132:135]// 000000002EBC: D3CD0084 0E12E5B2
	buffer_load_dwordx4 a[248:251], v150, s[20:23], 0 offen offset:1024// 000000002EC4: E05C1400 8085F896
	v_mfma_f32_16x16x16_f16 v[132:135], a[180:181], v[116:117], v[132:135]// 000000002ECC: D3CD0084 0E12E9B4
	v_mfma_f32_16x16x16_f16 v[132:135], a[182:183], v[118:119], v[132:135]// 000000002ED4: D3CD0084 0E12EDB6
	v_mfma_f32_16x16x16_f16 v[132:135], a[184:185], v[120:121], v[132:135]// 000000002EDC: D3CD0084 0E12F1B8
	v_mfma_f32_16x16x16_f16 v[132:135], a[186:187], v[122:123], v[132:135]// 000000002EE4: D3CD0084 0E12F5BA
	buffer_load_dwordx4 a[252:255], v151, s[20:23], 0 offen offset:1024// 000000002EEC: E05C1400 8085FC97
	v_mfma_f32_16x16x16_f16 v[132:135], a[188:189], v[124:125], v[132:135]// 000000002EF4: D3CD0084 0E12F9BC
	v_mfma_f32_16x16x16_f16 v[132:135], a[190:191], v[126:127], v[132:135]// 000000002EFC: D3CD0084 0E12FDBE
	s_lshr_b32 s60, s70, 4                                     // 000000002F04: 8F3C8446
	s_add_u32 s60, 48, s60                                     // 000000002F08: 803C3CB0
	s_cmp_ge_u32 s60, s73                                      // 000000002F0C: BF09493C
	s_cselect_b32 s56, 0, s56                                  // 000000002F10: 85383880
	v_mul_u32_u24_dpp v38, v16, v51 row_newbcast:0 row_mask:0xf bank_mask:0xf// 000000002F14: 104C66FA FF015010
	v_mul_u32_u24_dpp v39, v16, v51 row_newbcast:4 row_mask:0xf bank_mask:0xf// 000000002F1C: 104E66FA FF015410
	v_mul_u32_u24_dpp v40, v16, v51 row_newbcast:8 row_mask:0xf bank_mask:0xf// 000000002F24: 105066FA FF015810
	v_mul_u32_u24_dpp v41, v16, v51 row_newbcast:12 row_mask:0xf bank_mask:0xf// 000000002F2C: 105266FA FF015C10
	v_add_u32_e32 v22, v38, v6                                 // 000000002F34: 682C0D26
	v_add_u32_e32 v23, v39, v6                                 // 000000002F38: 682E0D27
	v_add_u32_e32 v24, v40, v6                                 // 000000002F3C: 68300D28
	v_add_u32_e32 v25, v41, v6                                 // 000000002F40: 68320D29
	v_mul_u32_u24_dpp v38, v16, v51 row_newbcast:1 row_mask:0xf bank_mask:0xf// 000000002F44: 104C66FA FF015110
	v_mul_u32_u24_dpp v39, v16, v51 row_newbcast:2 row_mask:0xf bank_mask:0xf// 000000002F4C: 104E66FA FF015210
	v_mul_u32_u24_dpp v40, v16, v51 row_newbcast:5 row_mask:0xf bank_mask:0xf// 000000002F54: 105066FA FF015510
	v_mul_u32_u24_dpp v41, v16, v51 row_newbcast:6 row_mask:0xf bank_mask:0xf// 000000002F5C: 105266FA FF015610
	v_add_u32_e32 v136, v38, v7                                // 000000002F64: 69100F26
	v_add_u32_e32 v137, v39, v7                                // 000000002F68: 69120F27
	v_add_u32_e32 v138, v40, v7                                // 000000002F6C: 69140F28
	v_add_u32_e32 v139, v41, v7                                // 000000002F70: 69160F29
	v_mul_u32_u24_dpp v38, v16, v51 row_newbcast:9 row_mask:0xf bank_mask:0xf// 000000002F74: 104C66FA FF015910
	v_mul_u32_u24_dpp v39, v16, v51 row_newbcast:10 row_mask:0xf bank_mask:0xf// 000000002F7C: 104E66FA FF015A10
	v_mul_u32_u24_dpp v40, v16, v51 row_newbcast:13 row_mask:0xf bank_mask:0xf// 000000002F84: 105066FA FF015D10
	v_mul_u32_u24_dpp v41, v16, v51 row_newbcast:7 row_mask:0xf bank_mask:0xf// 000000002F8C: 105266FA FF015710
	v_add_u32_e32 v140, v38, v7                                // 000000002F94: 69180F26
	v_add_u32_e32 v141, v39, v7                                // 000000002F98: 691A0F27
	v_add_u32_e32 v142, v40, v7                                // 000000002F9C: 691C0F28
	v_add_u32_e32 v143, v41, v7                                // 000000002FA0: 691E0F29
	v_add_u32_e32 v1, s56, v1                                  // 000000002FA4: 68020238
	s_addk_i32 s70, 0x100                                      // 000000002FA8: B7460100
	s_cmp_lt_i32 s70, s71                                      // 000000002FAC: BF044746
	s_cbranch_scc0 label_0538                                  // 000000002FB0: BF8401CB
	s_waitcnt vmcnt(16) lgkmcnt(0)                             // 000000002FB4: BF8C4070
	v_mfma_f32_16x16x16_f16 v[96:99], a[64:65], v[80:81], 0    // 000000002FB8: D3CD0060 0A02A140
	v_mfma_f32_16x16x16_f16 v[96:99], a[66:67], v[82:83], v[96:99]// 000000002FC0: D3CD0060 0D82A542
	buffer_load_dwordx4 a[0:3], v22, s[16:19], 0 offen         // 000000002FC8: E05C1000 80840016
	v_mfma_f32_16x16x16_f16 v[96:99], a[68:69], v[84:85], v[96:99]// 000000002FD0: D3CD0060 0D82A944
	v_mfma_f32_16x16x16_f16 v[96:99], a[70:71], v[86:87], v[96:99]// 000000002FD8: D3CD0060 0D82AD46
	buffer_load_dword v17, v1, s[24:27], 0 offen               // 000000002FE0: E0501000 80061101
	v_mfma_f32_16x16x16_f16 v[96:99], a[72:73], v[88:89], v[96:99]// 000000002FE8: D3CD0060 0D82B148
	v_mfma_f32_16x16x16_f16 v[96:99], a[74:75], v[90:91], v[96:99]// 000000002FF0: D3CD0060 0D82B54A
	buffer_load_dwordx4 a[4:7], v22, s[16:19], 0 offen offset:1024// 000000002FF8: E05C1400 80840416
	v_mfma_f32_16x16x16_f16 v[96:99], a[76:77], v[92:93], v[96:99]// 000000003000: D3CD0060 0D82B94C
	v_mfma_f32_16x16x16_f16 v[96:99], a[78:79], v[94:95], v[96:99]// 000000003008: D3CD0060 0D82BD4E
	v_mfma_f32_16x16x16_f16 v[100:103], a[80:81], v[80:81], 0  // 000000003010: D3CD0064 0A02A150
	v_mfma_f32_16x16x16_f16 v[100:103], a[82:83], v[82:83], v[100:103]// 000000003018: D3CD0064 0D92A552
	buffer_load_dwordx4 a[8:11], v22, s[16:19], 0 offen offset:2048// 000000003020: E05C1800 80840816
	v_mfma_f32_16x16x16_f16 v[100:103], a[84:85], v[84:85], v[100:103]// 000000003028: D3CD0064 0D92A954
	v_mfma_f32_16x16x16_f16 v[100:103], a[86:87], v[86:87], v[100:103]// 000000003030: D3CD0064 0D92AD56
	v_mfma_f32_16x16x16_f16 v[100:103], a[88:89], v[88:89], v[100:103]// 000000003038: D3CD0064 0D92B158
	v_mfma_f32_16x16x16_f16 v[100:103], a[90:91], v[90:91], v[100:103]// 000000003040: D3CD0064 0D92B55A
	buffer_load_dwordx4 a[12:15], v22, s[16:19], 0 offen offset:3072// 000000003048: E05C1C00 80840C16
	v_mfma_f32_16x16x16_f16 v[100:103], a[92:93], v[92:93], v[100:103]// 000000003050: D3CD0064 0D92B95C
	v_mfma_f32_16x16x16_f16 v[100:103], a[94:95], v[94:95], v[100:103]// 000000003058: D3CD0064 0D92BD5E
	v_mfma_f32_16x16x16_f16 v[104:107], a[96:97], v[80:81], 0  // 000000003060: D3CD0068 0A02A160
	v_mfma_f32_16x16x16_f16 v[104:107], a[98:99], v[82:83], v[104:107]// 000000003068: D3CD0068 0DA2A562
	buffer_load_dwordx4 a[16:19], v23, s[16:19], 0 offen       // 000000003070: E05C1000 80841017
	v_mfma_f32_16x16x16_f16 v[104:107], a[100:101], v[84:85], v[104:107]// 000000003078: D3CD0068 0DA2A964
	v_mfma_f32_16x16x16_f16 v[104:107], a[102:103], v[86:87], v[104:107]// 000000003080: D3CD0068 0DA2AD66
	v_mfma_f32_16x16x16_f16 v[104:107], a[104:105], v[88:89], v[104:107]// 000000003088: D3CD0068 0DA2B168
	v_mfma_f32_16x16x16_f16 v[104:107], a[106:107], v[90:91], v[104:107]// 000000003090: D3CD0068 0DA2B56A
	buffer_load_dwordx4 a[20:23], v23, s[16:19], 0 offen offset:1024// 000000003098: E05C1400 80841417
	v_mfma_f32_16x16x16_f16 v[104:107], a[108:109], v[92:93], v[104:107]// 0000000030A0: D3CD0068 0DA2B96C
	v_mfma_f32_16x16x16_f16 v[104:107], a[110:111], v[94:95], v[104:107]// 0000000030A8: D3CD0068 0DA2BD6E
	v_mfma_f32_16x16x16_f16 v[108:111], a[112:113], v[80:81], 0// 0000000030B0: D3CD006C 0A02A170
	v_mfma_f32_16x16x16_f16 v[108:111], a[114:115], v[82:83], v[108:111]// 0000000030B8: D3CD006C 0DB2A572
	buffer_load_dwordx4 a[24:27], v23, s[16:19], 0 offen offset:2048// 0000000030C0: E05C1800 80841817
	v_mfma_f32_16x16x16_f16 v[108:111], a[116:117], v[84:85], v[108:111]// 0000000030C8: D3CD006C 0DB2A974
	v_mfma_f32_16x16x16_f16 v[108:111], a[118:119], v[86:87], v[108:111]// 0000000030D0: D3CD006C 0DB2AD76
	v_mfma_f32_16x16x16_f16 v[108:111], a[120:121], v[88:89], v[108:111]// 0000000030D8: D3CD006C 0DB2B178
	v_mfma_f32_16x16x16_f16 v[108:111], a[122:123], v[90:91], v[108:111]// 0000000030E0: D3CD006C 0DB2B57A
	buffer_load_dwordx4 a[28:31], v23, s[16:19], 0 offen offset:3072// 0000000030E8: E05C1C00 80841C17
	v_mfma_f32_16x16x16_f16 v[108:111], a[124:125], v[92:93], v[108:111]// 0000000030F0: D3CD006C 0DB2B97C
	v_mfma_f32_16x16x16_f16 v[108:111], a[126:127], v[94:95], v[108:111]// 0000000030F8: D3CD006C 0DB2BD7E
	buffer_load_dwordx4 a[32:35], v24, s[16:19], 0 offen       // 000000003100: E05C1000 80842018
	s_nop 8                                                    // 000000003108: BF800008
	v_or_b32_dpp v96, v104, v96 row_shr:8 row_mask:0xf bank_mask:0xf bound_ctrl:1// 00000000310C: 28C0C0FA FF091868
	v_or_b32_dpp v97, v105, v97 row_shr:8 row_mask:0xf bank_mask:0xf bound_ctrl:1// 000000003114: 28C2C2FA FF091869
	v_or_b32_dpp v98, v106, v98 row_shr:8 row_mask:0xf bank_mask:0xf bound_ctrl:1// 00000000311C: 28C4C4FA FF09186A
	v_or_b32_dpp v99, v107, v99 row_shr:8 row_mask:0xf bank_mask:0xf bound_ctrl:1// 000000003124: 28C6C6FA FF09186B
	v_or_b32_dpp v100, v108, v100 row_shr:8 row_mask:0xf bank_mask:0xf bound_ctrl:1// 00000000312C: 28C8C8FA FF09186C
	v_or_b32_dpp v101, v109, v101 row_shr:8 row_mask:0xf bank_mask:0xf bound_ctrl:1// 000000003134: 28CACAFA FF09186D
	v_or_b32_dpp v102, v110, v102 row_shr:8 row_mask:0xf bank_mask:0xf bound_ctrl:1// 00000000313C: 28CCCCFA FF09186E
	v_or_b32_dpp v103, v111, v103 row_shr:8 row_mask:0xf bank_mask:0xf bound_ctrl:1// 000000003144: 28CECEFA FF09186F
	buffer_load_dwordx4 a[36:39], v24, s[16:19], 0 offen offset:1024// 00000000314C: E05C1400 80842418
	v_mov_b32_e32 v48, v96                                     // 000000003154: 7E600360
	v_max3_f32 v48, v96, v97, v48                              // 000000003158: D1D30030 04C2C360
	v_max3_f32 v48, v98, v99, v48                              // 000000003160: D1D30030 04C2C762
	v_max3_f32 v48, v100, v101, v48                            // 000000003168: D1D30030 04C2CB64
	v_max3_f32 v48, v102, v103, v48                            // 000000003170: D1D30030 04C2CF66
	ds_write_b32 v11, v48 offset:4224                          // 000000003178: D81A1080 0000300B
	buffer_load_dwordx4 a[40:43], v24, s[16:19], 0 offen offset:2048// 000000003180: E05C1800 80842818
	s_waitcnt lgkmcnt(0)                                       // 000000003188: BF8CC07F
	s_barrier                                                  // 00000000318C: BF8A0000
	ds_read_b32 v64, v10 offset:4224                           // 000000003190: D86C1080 4000000A
	buffer_load_dwordx4 a[44:47], v24, s[16:19], 0 offen offset:3072// 000000003198: E05C1C00 80842C18
	ds_read_b32 v65, v10 offset:4288                           // 0000000031A0: D86C10C0 4100000A
	ds_read_b32 v66, v10 offset:4352                           // 0000000031A8: D86C1100 4200000A
	ds_read_b32 v67, v10 offset:4416                           // 0000000031B0: D86C1140 4300000A
	ds_read_b32 v68, v10 offset:4480                           // 0000000031B8: D86C1180 4400000A
	ds_read_b32 v69, v10 offset:4544                           // 0000000031C0: D86C11C0 4500000A
	ds_read_b32 v70, v10 offset:4608                           // 0000000031C8: D86C1200 4600000A
	ds_read_b32 v71, v10 offset:4672                           // 0000000031D0: D86C1240 4700000A
	ds_read_b32 v72, v10 offset:4736                           // 0000000031D8: D86C1280 4800000A
	buffer_load_dwordx4 a[48:51], v25, s[16:19], 0 offen       // 0000000031E0: E05C1000 80843019
	ds_read_b32 v73, v10 offset:4800                           // 0000000031E8: D86C12C0 4900000A
	ds_read_b32 v74, v10 offset:4864                           // 0000000031F0: D86C1300 4A00000A
	ds_read_b32 v75, v10 offset:4928                           // 0000000031F8: D86C1340 4B00000A
	ds_read_b32 v76, v10 offset:4992                           // 000000003200: D86C1380 4C00000A
	ds_read_b32 v77, v10 offset:5056                           // 000000003208: D86C13C0 4D00000A
	ds_read_b32 v78, v10 offset:5120                           // 000000003210: D86C1400 4E00000A
	ds_read_b32 v79, v10 offset:5184                           // 000000003218: D86C1440 4F00000A
	buffer_load_dwordx4 a[52:55], v25, s[16:19], 0 offen offset:1024// 000000003220: E05C1400 80843419
	buffer_load_dwordx4 a[56:59], v25, s[16:19], 0 offen offset:2048// 000000003228: E05C1800 80843819
	s_waitcnt lgkmcnt(0)                                       // 000000003230: BF8CC07F
	v_max3_f32 v48, v64, v65, v48                              // 000000003234: D1D30030 04C28340
	v_max3_f32 v48, v66, v67, v48                              // 00000000323C: D1D30030 04C28742
	v_max3_f32 v48, v68, v69, v48                              // 000000003244: D1D30030 04C28B44
	v_max3_f32 v48, v70, v71, v48                              // 00000000324C: D1D30030 04C28F46
	v_max3_f32 v48, v72, v73, v48                              // 000000003254: D1D30030 04C29348
	v_max3_f32 v48, v74, v75, v48                              // 00000000325C: D1D30030 04C2974A
	v_max3_f32 v48, v76, v77, v48                              // 000000003264: D1D30030 04C29B4C
	v_max3_f32 v48, v78, v79, v48                              // 00000000326C: D1D30030 04C29F4E
	buffer_load_dwordx4 a[60:63], v25, s[16:19], 0 offen offset:3072// 000000003274: E05C1C00 80843C19
	v_cmp_eq_u32_e64 s[40:41], v52, v14                        // 00000000327C: D0CA0028 00021D34
	s_nop 1                                                    // 000000003284: BF800001
	v_mov_b32_dpp v38, v48 row_ror:8 row_mask:0xf bank_mask:0xf// 000000003288: 7E4C02FA FF012830
	v_max_f32_e32 v48, v48, v38                                // 000000003290: 16604D30
	v_max_f32_e32 v15, v48, v14                                // 000000003294: 161E1D30
	v_sub_f32_e32 v49, v14, v15                                // 000000003298: 04621F0E
	v_cndmask_b32_e64 v49, v49, 0, s[40:41]                    // 00000000329C: D1000031 00A10131
	v_mov_b32_e32 v14, v15                                     // 0000000032A4: 7E1C030F
	v_mul_f32_e32 v50, s64, v15                                // 0000000032A8: 0A641E40
	v_mul_f32_e32 v49, s64, v49                                // 0000000032AC: 0A626240
	v_exp_f32_e32 v49, v49                                     // 0000000032B0: 7E624131
	buffer_load_dwordx4 a[128:131], v136, s[20:23], 0 offen    // 0000000032B4: E05C1000 80858088
	v_fma_f32 v96, v96, s64, -v50                              // 0000000032BC: D1CB0060 84C88160
	v_fma_f32 v97, v97, s64, -v50                              // 0000000032C4: D1CB0061 84C88161
	v_fma_f32 v98, v98, s64, -v50                              // 0000000032CC: D1CB0062 84C88162
	v_fma_f32 v99, v99, s64, -v50                              // 0000000032D4: D1CB0063 84C88163
	v_fma_f32 v100, v100, s64, -v50                            // 0000000032DC: D1CB0064 84C88164
	v_fma_f32 v101, v101, s64, -v50                            // 0000000032E4: D1CB0065 84C88165
	v_fma_f32 v102, v102, s64, -v50                            // 0000000032EC: D1CB0066 84C88166
	v_fma_f32 v103, v103, s64, -v50                            // 0000000032F4: D1CB0067 84C88167
	v_exp_f32_e32 v96, v96                                     // 0000000032FC: 7EC04160
	v_exp_f32_e32 v97, v97                                     // 000000003300: 7EC24161
	v_exp_f32_e32 v98, v98                                     // 000000003304: 7EC44162
	v_exp_f32_e32 v99, v99                                     // 000000003308: 7EC64163
	v_exp_f32_e32 v100, v100                                   // 00000000330C: 7EC84164
	v_exp_f32_e32 v101, v101                                   // 000000003310: 7ECA4165
	v_exp_f32_e32 v102, v102                                   // 000000003314: 7ECC4166
	v_exp_f32_e32 v103, v103                                   // 000000003318: 7ECE4167
	buffer_load_dwordx4 a[132:135], v137, s[20:23], 0 offen    // 00000000331C: E05C1000 80858489
	v_mul_f32_e32 v42, v49, v42                                // 000000003324: 0A545531
	v_mov_b32_e32 v43, v96                                     // 000000003328: 7E560360
	v_add_f32_e32 v43, v97, v43                                // 00000000332C: 02565761
	v_add_f32_e32 v43, v98, v43                                // 000000003330: 02565762
	v_add_f32_e32 v43, v99, v43                                // 000000003334: 02565763
	v_add_f32_e32 v43, v100, v43                               // 000000003338: 02565764
	v_add_f32_e32 v43, v101, v43                               // 00000000333C: 02565765
	v_add_f32_e32 v43, v102, v43                               // 000000003340: 02565766
	v_add_f32_e32 v43, v103, v43                               // 000000003344: 02565767
	v_add_f32_e32 v42, v43, v42                                // 000000003348: 0254552B
	buffer_load_dwordx4 a[136:139], v138, s[20:23], 0 offen    // 00000000334C: E05C1000 8085888A
	v_cvt_pkrtz_f16_f32 v38, v96, v97                          // 000000003354: D2960026 0002C360
	v_mov_b32_e32 v96, v38                                     // 00000000335C: 7EC00326
	v_cvt_pkrtz_f16_f32 v38, v98, v99                          // 000000003360: D2960026 0002C762
	v_mov_b32_e32 v97, v38                                     // 000000003368: 7EC20326
	v_cvt_pkrtz_f16_f32 v38, v100, v101                        // 00000000336C: D2960026 0002CB64
	v_mov_b32_e32 v98, v38                                     // 000000003374: 7EC40326
	v_cvt_pkrtz_f16_f32 v38, v102, v103                        // 000000003378: D2960026 0002CF66
	v_mov_b32_e32 v99, v38                                     // 000000003380: 7EC60326
	buffer_load_dwordx4 a[140:143], v139, s[20:23], 0 offen    // 000000003384: E05C1000 80858C8B
	buffer_load_dwordx4 a[144:147], v140, s[20:23], 0 offen    // 00000000338C: E05C1000 8085908C
	ds_write_b64 v13, v[96:97] offset:5248                     // 000000003394: D89A1480 0000600D
	ds_write_b64 v13, v[98:99] offset:7296                     // 00000000339C: D89A1C80 0000620D
	buffer_load_dwordx4 a[148:151], v141, s[20:23], 0 offen    // 0000000033A4: E05C1000 8085948D
	s_waitcnt lgkmcnt(0)                                       // 0000000033AC: BF8CC07F
	s_barrier                                                  // 0000000033B0: BF8A0000
	ds_read_b64 v[96:97], v12 offset:5248                      // 0000000033B4: D8EC1480 6000000C
	ds_read_b64 v[98:99], v12 offset:5376                      // 0000000033BC: D8EC1500 6200000C
	ds_read_b64 v[100:101], v12 offset:6272                    // 0000000033C4: D8EC1880 6400000C
	ds_read_b64 v[102:103], v12 offset:6400                    // 0000000033CC: D8EC1900 6600000C
	ds_read_b64 v[104:105], v12 offset:7296                    // 0000000033D4: D8EC1C80 6800000C
	ds_read_b64 v[106:107], v12 offset:7424                    // 0000000033DC: D8EC1D00 6A00000C
	ds_read_b64 v[108:109], v12 offset:8320                    // 0000000033E4: D8EC2080 6C00000C
	ds_read_b64 v[110:111], v12 offset:8448                    // 0000000033EC: D8EC2100 6E00000C
	buffer_load_dwordx4 a[152:155], v142, s[20:23], 0 offen    // 0000000033F4: E05C1000 8085988E
	s_waitcnt lgkmcnt(0)                                       // 0000000033FC: BF8CC07F
	v_mov_b32_dpp v112, v96 row_shl:8 row_mask:0xf bank_mask:0xf bound_ctrl:1// 000000003400: 7EE002FA FF090860
	v_and_b32_e32 v96, v96, v9                                 // 000000003408: 26C01360
	v_mov_b32_dpp v113, v97 row_shl:8 row_mask:0xf bank_mask:0xf bound_ctrl:1// 00000000340C: 7EE202FA FF090861
	v_and_b32_e32 v97, v97, v9                                 // 000000003414: 26C21361
	v_mov_b32_dpp v114, v98 row_shl:8 row_mask:0xf bank_mask:0xf bound_ctrl:1// 000000003418: 7EE402FA FF090862
	v_and_b32_e32 v98, v98, v9                                 // 000000003420: 26C41362
	v_mov_b32_dpp v115, v99 row_shl:8 row_mask:0xf bank_mask:0xf bound_ctrl:1// 000000003424: 7EE602FA FF090863
	v_and_b32_e32 v99, v99, v9                                 // 00000000342C: 26C61363
	v_mov_b32_dpp v116, v100 row_shl:8 row_mask:0xf bank_mask:0xf bound_ctrl:1// 000000003430: 7EE802FA FF090864
	v_and_b32_e32 v100, v100, v9                               // 000000003438: 26C81364
	v_mov_b32_dpp v117, v101 row_shl:8 row_mask:0xf bank_mask:0xf bound_ctrl:1// 00000000343C: 7EEA02FA FF090865
	v_and_b32_e32 v101, v101, v9                               // 000000003444: 26CA1365
	v_mov_b32_dpp v118, v102 row_shl:8 row_mask:0xf bank_mask:0xf bound_ctrl:1// 000000003448: 7EEC02FA FF090866
	v_and_b32_e32 v102, v102, v9                               // 000000003450: 26CC1366
	v_mov_b32_dpp v119, v103 row_shl:8 row_mask:0xf bank_mask:0xf bound_ctrl:1// 000000003454: 7EEE02FA FF090867
	v_and_b32_e32 v103, v103, v9                               // 00000000345C: 26CE1367
	v_mov_b32_dpp v120, v104 row_shl:8 row_mask:0xf bank_mask:0xf bound_ctrl:1// 000000003460: 7EF002FA FF090868
	v_and_b32_e32 v104, v104, v9                               // 000000003468: 26D01368
	v_mov_b32_dpp v121, v105 row_shl:8 row_mask:0xf bank_mask:0xf bound_ctrl:1// 00000000346C: 7EF202FA FF090869
	v_and_b32_e32 v105, v105, v9                               // 000000003474: 26D21369
	v_mov_b32_dpp v122, v106 row_shl:8 row_mask:0xf bank_mask:0xf bound_ctrl:1// 000000003478: 7EF402FA FF09086A
	v_and_b32_e32 v106, v106, v9                               // 000000003480: 26D4136A
	v_mov_b32_dpp v123, v107 row_shl:8 row_mask:0xf bank_mask:0xf bound_ctrl:1// 000000003484: 7EF602FA FF09086B
	v_and_b32_e32 v107, v107, v9                               // 00000000348C: 26D6136B
	v_mov_b32_dpp v124, v108 row_shl:8 row_mask:0xf bank_mask:0xf bound_ctrl:1// 000000003490: 7EF802FA FF09086C
	v_and_b32_e32 v108, v108, v9                               // 000000003498: 26D8136C
	v_mov_b32_dpp v125, v109 row_shl:8 row_mask:0xf bank_mask:0xf bound_ctrl:1// 00000000349C: 7EFA02FA FF09086D
	v_and_b32_e32 v109, v109, v9                               // 0000000034A4: 26DA136D
	v_mov_b32_dpp v126, v110 row_shl:8 row_mask:0xf bank_mask:0xf bound_ctrl:1// 0000000034A8: 7EFC02FA FF09086E
	v_and_b32_e32 v110, v110, v9                               // 0000000034B0: 26DC136E
	v_mov_b32_dpp v127, v111 row_shl:8 row_mask:0xf bank_mask:0xf bound_ctrl:1// 0000000034B4: 7EFE02FA FF09086F
	v_and_b32_e32 v111, v111, v9                               // 0000000034BC: 26DE136F
	buffer_load_dwordx4 a[156:159], v143, s[20:23], 0 offen    // 0000000034C0: E05C1000 80859C8F
	v_mul_f32_e32 v128, v49, v128                              // 0000000034C8: 0B010131
	v_mul_f32_e32 v129, v49, v129                              // 0000000034CC: 0B030331
	v_mul_f32_e32 v130, v49, v130                              // 0000000034D0: 0B050531
	v_mul_f32_e32 v131, v49, v131                              // 0000000034D4: 0B070731
	v_mul_f32_e32 v132, v49, v132                              // 0000000034D8: 0B090931
	v_mul_f32_e32 v133, v49, v133                              // 0000000034DC: 0B0B0B31
	v_mul_f32_e32 v134, v49, v134                              // 0000000034E0: 0B0D0D31
	v_mul_f32_e32 v135, v49, v135                              // 0000000034E4: 0B0F0F31
	s_waitcnt vmcnt(24)                                        // 0000000034E8: BF8C4F78
	v_mfma_f32_16x16x16_f16 v[128:131], a[192:193], v[96:97], v[128:131]// 0000000034EC: D3CD0080 0E02C1C0
	v_mfma_f32_16x16x16_f16 v[128:131], a[194:195], v[98:99], v[128:131]// 0000000034F4: D3CD0080 0E02C5C2
	buffer_load_dwordx4 a[160:163], v136, s[20:23], 0 offen offset:1024// 0000000034FC: E05C1400 8085A088
	v_mfma_f32_16x16x16_f16 v[128:131], a[196:197], v[100:101], v[128:131]// 000000003504: D3CD0080 0E02C9C4
	v_mfma_f32_16x16x16_f16 v[128:131], a[198:199], v[102:103], v[128:131]// 00000000350C: D3CD0080 0E02CDC6
	v_mfma_f32_16x16x16_f16 v[128:131], a[200:201], v[104:105], v[128:131]// 000000003514: D3CD0080 0E02D1C8
	v_mfma_f32_16x16x16_f16 v[128:131], a[202:203], v[106:107], v[128:131]// 00000000351C: D3CD0080 0E02D5CA
	buffer_load_dwordx4 a[164:167], v137, s[20:23], 0 offen offset:1024// 000000003524: E05C1400 8085A489
	v_mfma_f32_16x16x16_f16 v[128:131], a[204:205], v[108:109], v[128:131]// 00000000352C: D3CD0080 0E02D9CC
	v_mfma_f32_16x16x16_f16 v[128:131], a[206:207], v[110:111], v[128:131]// 000000003534: D3CD0080 0E02DDCE
	v_mfma_f32_16x16x16_f16 v[128:131], a[208:209], v[112:113], v[128:131]// 00000000353C: D3CD0080 0E02E1D0
	v_mfma_f32_16x16x16_f16 v[128:131], a[210:211], v[114:115], v[128:131]// 000000003544: D3CD0080 0E02E5D2
	buffer_load_dwordx4 a[168:171], v138, s[20:23], 0 offen offset:1024// 00000000354C: E05C1400 8085A88A
	v_mfma_f32_16x16x16_f16 v[128:131], a[212:213], v[116:117], v[128:131]// 000000003554: D3CD0080 0E02E9D4
	v_mfma_f32_16x16x16_f16 v[128:131], a[214:215], v[118:119], v[128:131]// 00000000355C: D3CD0080 0E02EDD6
	v_mfma_f32_16x16x16_f16 v[128:131], a[216:217], v[120:121], v[128:131]// 000000003564: D3CD0080 0E02F1D8
	v_mfma_f32_16x16x16_f16 v[128:131], a[218:219], v[122:123], v[128:131]// 00000000356C: D3CD0080 0E02F5DA
	buffer_load_dwordx4 a[172:175], v139, s[20:23], 0 offen offset:1024// 000000003574: E05C1400 8085AC8B
	v_mfma_f32_16x16x16_f16 v[128:131], a[220:221], v[124:125], v[128:131]// 00000000357C: D3CD0080 0E02F9DC
	v_mfma_f32_16x16x16_f16 v[128:131], a[222:223], v[126:127], v[128:131]// 000000003584: D3CD0080 0E02FDDE
	v_mfma_f32_16x16x16_f16 v[132:135], a[224:225], v[96:97], v[132:135]// 00000000358C: D3CD0084 0E12C1E0
	v_mfma_f32_16x16x16_f16 v[132:135], a[226:227], v[98:99], v[132:135]// 000000003594: D3CD0084 0E12C5E2
	buffer_load_dwordx4 a[176:179], v140, s[20:23], 0 offen offset:1024// 00000000359C: E05C1400 8085B08C
	v_mfma_f32_16x16x16_f16 v[132:135], a[228:229], v[100:101], v[132:135]// 0000000035A4: D3CD0084 0E12C9E4
	v_mfma_f32_16x16x16_f16 v[132:135], a[230:231], v[102:103], v[132:135]// 0000000035AC: D3CD0084 0E12CDE6
	v_mfma_f32_16x16x16_f16 v[132:135], a[232:233], v[104:105], v[132:135]// 0000000035B4: D3CD0084 0E12D1E8
	v_mfma_f32_16x16x16_f16 v[132:135], a[234:235], v[106:107], v[132:135]// 0000000035BC: D3CD0084 0E12D5EA
	buffer_load_dwordx4 a[180:183], v141, s[20:23], 0 offen offset:1024// 0000000035C4: E05C1400 8085B48D
	v_mfma_f32_16x16x16_f16 v[132:135], a[236:237], v[108:109], v[132:135]// 0000000035CC: D3CD0084 0E12D9EC
	v_mfma_f32_16x16x16_f16 v[132:135], a[238:239], v[110:111], v[132:135]// 0000000035D4: D3CD0084 0E12DDEE
	v_mfma_f32_16x16x16_f16 v[132:135], a[240:241], v[112:113], v[132:135]// 0000000035DC: D3CD0084 0E12E1F0
	v_mfma_f32_16x16x16_f16 v[132:135], a[242:243], v[114:115], v[132:135]// 0000000035E4: D3CD0084 0E12E5F2
	buffer_load_dwordx4 a[184:187], v142, s[20:23], 0 offen offset:1024// 0000000035EC: E05C1400 8085B88E
	v_mfma_f32_16x16x16_f16 v[132:135], a[244:245], v[116:117], v[132:135]// 0000000035F4: D3CD0084 0E12E9F4
	v_mfma_f32_16x16x16_f16 v[132:135], a[246:247], v[118:119], v[132:135]// 0000000035FC: D3CD0084 0E12EDF6
	v_mfma_f32_16x16x16_f16 v[132:135], a[248:249], v[120:121], v[132:135]// 000000003604: D3CD0084 0E12F1F8
	v_mfma_f32_16x16x16_f16 v[132:135], a[250:251], v[122:123], v[132:135]// 00000000360C: D3CD0084 0E12F5FA
	buffer_load_dwordx4 a[188:191], v143, s[20:23], 0 offen offset:1024// 000000003614: E05C1400 8085BC8F
	v_mfma_f32_16x16x16_f16 v[132:135], a[252:253], v[124:125], v[132:135]// 00000000361C: D3CD0084 0E12F9FC
	v_mfma_f32_16x16x16_f16 v[132:135], a[254:255], v[126:127], v[132:135]// 000000003624: D3CD0084 0E12FDFE
	s_lshr_b32 s60, s70, 4                                     // 00000000362C: 8F3C8446
	s_add_u32 s60, 48, s60                                     // 000000003630: 803C3CB0
	s_cmp_ge_u32 s60, s73                                      // 000000003634: BF09493C
	s_cselect_b32 s56, 0, s56                                  // 000000003638: 85383880
	v_mul_u32_u24_dpp v38, v17, v51 row_newbcast:0 row_mask:0xf bank_mask:0xf// 00000000363C: 104C66FA FF015011
	v_mul_u32_u24_dpp v39, v17, v51 row_newbcast:4 row_mask:0xf bank_mask:0xf// 000000003644: 104E66FA FF015411
	v_mul_u32_u24_dpp v40, v17, v51 row_newbcast:8 row_mask:0xf bank_mask:0xf// 00000000364C: 105066FA FF015811
	v_mul_u32_u24_dpp v41, v17, v51 row_newbcast:12 row_mask:0xf bank_mask:0xf// 000000003654: 105266FA FF015C11
	v_add_u32_e32 v26, v38, v6                                 // 00000000365C: 68340D26
	v_add_u32_e32 v27, v39, v6                                 // 000000003660: 68360D27
	v_add_u32_e32 v28, v40, v6                                 // 000000003664: 68380D28
	v_add_u32_e32 v29, v41, v6                                 // 000000003668: 683A0D29
	v_mul_u32_u24_dpp v38, v17, v51 row_newbcast:1 row_mask:0xf bank_mask:0xf// 00000000366C: 104C66FA FF015111
	v_mul_u32_u24_dpp v39, v17, v51 row_newbcast:2 row_mask:0xf bank_mask:0xf// 000000003674: 104E66FA FF015211
	v_mul_u32_u24_dpp v40, v17, v51 row_newbcast:5 row_mask:0xf bank_mask:0xf// 00000000367C: 105066FA FF015511
	v_mul_u32_u24_dpp v41, v17, v51 row_newbcast:6 row_mask:0xf bank_mask:0xf// 000000003684: 105266FA FF015611
	v_add_u32_e32 v144, v38, v7                                // 00000000368C: 69200F26
	v_add_u32_e32 v145, v39, v7                                // 000000003690: 69220F27
	v_add_u32_e32 v146, v40, v7                                // 000000003694: 69240F28
	v_add_u32_e32 v147, v41, v7                                // 000000003698: 69260F29
	v_mul_u32_u24_dpp v38, v17, v51 row_newbcast:9 row_mask:0xf bank_mask:0xf// 00000000369C: 104C66FA FF015911
	v_mul_u32_u24_dpp v39, v17, v51 row_newbcast:10 row_mask:0xf bank_mask:0xf// 0000000036A4: 104E66FA FF015A11
	v_mul_u32_u24_dpp v40, v17, v51 row_newbcast:13 row_mask:0xf bank_mask:0xf// 0000000036AC: 105066FA FF015D11
	v_mul_u32_u24_dpp v41, v17, v51 row_newbcast:7 row_mask:0xf bank_mask:0xf// 0000000036B4: 105266FA FF015711
	v_add_u32_e32 v148, v38, v7                                // 0000000036BC: 69280F26
	v_add_u32_e32 v149, v39, v7                                // 0000000036C0: 692A0F27
	v_add_u32_e32 v150, v40, v7                                // 0000000036C4: 692C0F28
	v_add_u32_e32 v151, v41, v7                                // 0000000036C8: 692E0F29
	v_add_u32_e32 v1, s56, v1                                  // 0000000036CC: 68020238
	s_addk_i32 s70, 0x100                                      // 0000000036D0: B7460100
	s_cmp_lt_i32 s70, s71                                      // 0000000036D4: BF044746
	s_cbranch_scc0 label_0538                                  // 0000000036D8: BF840001
	s_branch label_01A3                                        // 0000000036DC: BF82FC6B

00000000000036e0 <label_0538>:
	s_nop 0                                                    // 0000000036E0: BF800000
	s_nop 0                                                    // 0000000036E4: BF800000
	s_branch label_08D0                                        // 0000000036E8: BF820395

00000000000036ec <label_053B>:
	s_waitcnt vmcnt(16) lgkmcnt(0)                             // 0000000036EC: BF8C4070
	v_mfma_f32_16x16x16_f16 v[96:99], a[0:1], v[80:81], 0      // 0000000036F0: D3CD0060 0A02A100
	buffer_load_dwordx4 a[64:67], v26, s[16:19], 0 offen       // 0000000036F8: E05C1000 8084401A
	v_mfma_f32_16x16x16_f16 v[96:99], a[2:3], v[82:83], v[96:99]// 000000003700: D3CD0060 0D82A502
	v_mfma_f32_16x16x16_f16 v[96:99], a[4:5], v[84:85], v[96:99]// 000000003708: D3CD0060 0D82A904
	buffer_load_dword v16, v1, s[24:27], 0 offen               // 000000003710: E0501000 80061001
	v_mfma_f32_16x16x16_f16 v[96:99], a[6:7], v[86:87], v[96:99]// 000000003718: D3CD0060 0D82AD06
	v_mfma_f32_16x16x16_f16 v[96:99], a[8:9], v[88:89], v[96:99]// 000000003720: D3CD0060 0D82B108
	buffer_load_dwordx4 a[68:71], v26, s[16:19], 0 offen offset:1024// 000000003728: E05C1400 8084441A
	v_mfma_f32_16x16x16_f16 v[96:99], a[10:11], v[90:91], v[96:99]// 000000003730: D3CD0060 0D82B50A
	v_mfma_f32_16x16x16_f16 v[96:99], a[12:13], v[92:93], v[96:99]// 000000003738: D3CD0060 0D82B90C
	v_mfma_f32_16x16x16_f16 v[96:99], a[14:15], v[94:95], v[96:99]// 000000003740: D3CD0060 0D82BD0E
	v_mfma_f32_16x16x16_f16 v[100:103], a[16:17], v[80:81], 0  // 000000003748: D3CD0064 0A02A110
	buffer_load_dwordx4 a[72:75], v26, s[16:19], 0 offen offset:2048// 000000003750: E05C1800 8084481A
	v_mfma_f32_16x16x16_f16 v[100:103], a[18:19], v[82:83], v[100:103]// 000000003758: D3CD0064 0D92A512
	v_mfma_f32_16x16x16_f16 v[100:103], a[20:21], v[84:85], v[100:103]// 000000003760: D3CD0064 0D92A914
	v_mfma_f32_16x16x16_f16 v[100:103], a[22:23], v[86:87], v[100:103]// 000000003768: D3CD0064 0D92AD16
	v_mfma_f32_16x16x16_f16 v[100:103], a[24:25], v[88:89], v[100:103]// 000000003770: D3CD0064 0D92B118
	buffer_load_dwordx4 a[76:79], v26, s[16:19], 0 offen offset:3072// 000000003778: E05C1C00 80844C1A
	v_mfma_f32_16x16x16_f16 v[100:103], a[26:27], v[90:91], v[100:103]// 000000003780: D3CD0064 0D92B51A
	v_mfma_f32_16x16x16_f16 v[100:103], a[28:29], v[92:93], v[100:103]// 000000003788: D3CD0064 0D92B91C
	v_mfma_f32_16x16x16_f16 v[100:103], a[30:31], v[94:95], v[100:103]// 000000003790: D3CD0064 0D92BD1E
	v_mfma_f32_16x16x16_f16 v[104:107], a[32:33], v[80:81], 0  // 000000003798: D3CD0068 0A02A120
	buffer_load_dwordx4 a[80:83], v27, s[16:19], 0 offen       // 0000000037A0: E05C1000 8084501B
	v_mfma_f32_16x16x16_f16 v[104:107], a[34:35], v[82:83], v[104:107]// 0000000037A8: D3CD0068 0DA2A522
	v_mfma_f32_16x16x16_f16 v[104:107], a[36:37], v[84:85], v[104:107]// 0000000037B0: D3CD0068 0DA2A924
	v_mfma_f32_16x16x16_f16 v[104:107], a[38:39], v[86:87], v[104:107]// 0000000037B8: D3CD0068 0DA2AD26
	v_mfma_f32_16x16x16_f16 v[104:107], a[40:41], v[88:89], v[104:107]// 0000000037C0: D3CD0068 0DA2B128
	buffer_load_dwordx4 a[84:87], v27, s[16:19], 0 offen offset:1024// 0000000037C8: E05C1400 8084541B
	v_mfma_f32_16x16x16_f16 v[104:107], a[42:43], v[90:91], v[104:107]// 0000000037D0: D3CD0068 0DA2B52A
	v_mfma_f32_16x16x16_f16 v[104:107], a[44:45], v[92:93], v[104:107]// 0000000037D8: D3CD0068 0DA2B92C
	v_mfma_f32_16x16x16_f16 v[104:107], a[46:47], v[94:95], v[104:107]// 0000000037E0: D3CD0068 0DA2BD2E
	v_mfma_f32_16x16x16_f16 v[108:111], a[48:49], v[80:81], 0  // 0000000037E8: D3CD006C 0A02A130
	buffer_load_dwordx4 a[88:91], v27, s[16:19], 0 offen offset:2048// 0000000037F0: E05C1800 8084581B
	v_mfma_f32_16x16x16_f16 v[108:111], a[50:51], v[82:83], v[108:111]// 0000000037F8: D3CD006C 0DB2A532
	v_mfma_f32_16x16x16_f16 v[108:111], a[52:53], v[84:85], v[108:111]// 000000003800: D3CD006C 0DB2A934
	v_mfma_f32_16x16x16_f16 v[108:111], a[54:55], v[86:87], v[108:111]// 000000003808: D3CD006C 0DB2AD36
	v_mfma_f32_16x16x16_f16 v[108:111], a[56:57], v[88:89], v[108:111]// 000000003810: D3CD006C 0DB2B138
	buffer_load_dwordx4 a[92:95], v27, s[16:19], 0 offen offset:3072// 000000003818: E05C1C00 80845C1B
	v_mfma_f32_16x16x16_f16 v[108:111], a[58:59], v[90:91], v[108:111]// 000000003820: D3CD006C 0DB2B53A
	v_mfma_f32_16x16x16_f16 v[108:111], a[60:61], v[92:93], v[108:111]// 000000003828: D3CD006C 0DB2B93C
	v_mfma_f32_16x16x16_f16 v[108:111], a[62:63], v[94:95], v[108:111]// 000000003830: D3CD006C 0DB2BD3E
	buffer_load_dwordx4 a[96:99], v28, s[16:19], 0 offen       // 000000003838: E05C1000 8084601C
	s_nop 8                                                    // 000000003840: BF800008
	v_or_b32_dpp v96, v104, v96 row_shr:8 row_mask:0xf bank_mask:0xf bound_ctrl:1// 000000003844: 28C0C0FA FF091868
	v_or_b32_dpp v97, v105, v97 row_shr:8 row_mask:0xf bank_mask:0xf bound_ctrl:1// 00000000384C: 28C2C2FA FF091869
	v_or_b32_dpp v98, v106, v98 row_shr:8 row_mask:0xf bank_mask:0xf bound_ctrl:1// 000000003854: 28C4C4FA FF09186A
	v_or_b32_dpp v99, v107, v99 row_shr:8 row_mask:0xf bank_mask:0xf bound_ctrl:1// 00000000385C: 28C6C6FA FF09186B
	v_or_b32_dpp v100, v108, v100 row_shr:8 row_mask:0xf bank_mask:0xf bound_ctrl:1// 000000003864: 28C8C8FA FF09186C
	v_or_b32_dpp v101, v109, v101 row_shr:8 row_mask:0xf bank_mask:0xf bound_ctrl:1// 00000000386C: 28CACAFA FF09186D
	v_or_b32_dpp v102, v110, v102 row_shr:8 row_mask:0xf bank_mask:0xf bound_ctrl:1// 000000003874: 28CCCCFA FF09186E
	v_or_b32_dpp v103, v111, v103 row_shr:8 row_mask:0xf bank_mask:0xf bound_ctrl:1// 00000000387C: 28CECEFA FF09186F
	buffer_load_dwordx4 a[100:103], v28, s[16:19], 0 offen offset:1024// 000000003884: E05C1400 8084641C
	v_mov_b32_e32 v48, v96                                     // 00000000388C: 7E600360
	v_max3_f32 v48, v96, v97, v48                              // 000000003890: D1D30030 04C2C360
	v_max3_f32 v48, v98, v99, v48                              // 000000003898: D1D30030 04C2C762
	v_max3_f32 v48, v100, v101, v48                            // 0000000038A0: D1D30030 04C2CB64
	v_max3_f32 v48, v102, v103, v48                            // 0000000038A8: D1D30030 04C2CF66
	ds_write_b32 v11, v48 offset:4224                          // 0000000038B0: D81A1080 0000300B
	buffer_load_dwordx4 a[104:107], v28, s[16:19], 0 offen offset:2048// 0000000038B8: E05C1800 8084681C
	s_waitcnt lgkmcnt(0)                                       // 0000000038C0: BF8CC07F
	s_barrier                                                  // 0000000038C4: BF8A0000
	ds_read_b32 v64, v10 offset:4224                           // 0000000038C8: D86C1080 4000000A
	buffer_load_dwordx4 a[108:111], v28, s[16:19], 0 offen offset:3072// 0000000038D0: E05C1C00 80846C1C
	ds_read_b32 v65, v10 offset:4288                           // 0000000038D8: D86C10C0 4100000A
	ds_read_b32 v66, v10 offset:4352                           // 0000000038E0: D86C1100 4200000A
	ds_read_b32 v67, v10 offset:4416                           // 0000000038E8: D86C1140 4300000A
	ds_read_b32 v68, v10 offset:4480                           // 0000000038F0: D86C1180 4400000A
	ds_read_b32 v69, v10 offset:4544                           // 0000000038F8: D86C11C0 4500000A
	ds_read_b32 v70, v10 offset:4608                           // 000000003900: D86C1200 4600000A
	ds_read_b32 v71, v10 offset:4672                           // 000000003908: D86C1240 4700000A
	ds_read_b32 v72, v10 offset:4736                           // 000000003910: D86C1280 4800000A
	buffer_load_dwordx4 a[112:115], v29, s[16:19], 0 offen     // 000000003918: E05C1000 8084701D
	ds_read_b32 v73, v10 offset:4800                           // 000000003920: D86C12C0 4900000A
	ds_read_b32 v74, v10 offset:4864                           // 000000003928: D86C1300 4A00000A
	ds_read_b32 v75, v10 offset:4928                           // 000000003930: D86C1340 4B00000A
	ds_read_b32 v76, v10 offset:4992                           // 000000003938: D86C1380 4C00000A
	ds_read_b32 v77, v10 offset:5056                           // 000000003940: D86C13C0 4D00000A
	ds_read_b32 v78, v10 offset:5120                           // 000000003948: D86C1400 4E00000A
	ds_read_b32 v79, v10 offset:5184                           // 000000003950: D86C1440 4F00000A
	buffer_load_dwordx4 a[116:119], v29, s[16:19], 0 offen offset:1024// 000000003958: E05C1400 8084741D
	buffer_load_dwordx4 a[120:123], v29, s[16:19], 0 offen offset:2048// 000000003960: E05C1800 8084781D
	s_waitcnt lgkmcnt(0)                                       // 000000003968: BF8CC07F
	v_max3_f32 v48, v64, v65, v48                              // 00000000396C: D1D30030 04C28340
	v_max3_f32 v48, v66, v67, v48                              // 000000003974: D1D30030 04C28742
	v_max3_f32 v48, v68, v69, v48                              // 00000000397C: D1D30030 04C28B44
	v_max3_f32 v48, v70, v71, v48                              // 000000003984: D1D30030 04C28F46
	v_max3_f32 v48, v72, v73, v48                              // 00000000398C: D1D30030 04C29348
	v_max3_f32 v48, v74, v75, v48                              // 000000003994: D1D30030 04C2974A
	v_max3_f32 v48, v76, v77, v48                              // 00000000399C: D1D30030 04C29B4C
	v_max3_f32 v48, v78, v79, v48                              // 0000000039A4: D1D30030 04C29F4E
	buffer_load_dwordx4 a[124:127], v29, s[16:19], 0 offen offset:3072// 0000000039AC: E05C1C00 80847C1D
	v_cmp_eq_u32_e64 s[40:41], v52, v14                        // 0000000039B4: D0CA0028 00021D34
	s_nop 1                                                    // 0000000039BC: BF800001
	v_mov_b32_dpp v38, v48 row_ror:8 row_mask:0xf bank_mask:0xf// 0000000039C0: 7E4C02FA FF012830
	v_max_f32_e32 v48, v48, v38                                // 0000000039C8: 16604D30
	v_max_f32_e32 v15, v48, v14                                // 0000000039CC: 161E1D30
	v_sub_f32_e32 v49, v14, v15                                // 0000000039D0: 04621F0E
	v_cndmask_b32_e64 v49, v49, 0, s[40:41]                    // 0000000039D4: D1000031 00A10131
	v_mov_b32_e32 v14, v15                                     // 0000000039DC: 7E1C030F
	v_mul_f32_e32 v50, s64, v15                                // 0000000039E0: 0A641E40
	v_mul_f32_e32 v49, s64, v49                                // 0000000039E4: 0A626240
	v_exp_f32_e32 v49, v49                                     // 0000000039E8: 7E624131
	buffer_load_dwordx4 a[192:195], v144, s[20:23], 0 offen    // 0000000039EC: E05C1000 8085C090
	v_fma_f32 v96, v96, s64, -v50                              // 0000000039F4: D1CB0060 84C88160
	v_fma_f32 v97, v97, s64, -v50                              // 0000000039FC: D1CB0061 84C88161
	v_fma_f32 v98, v98, s64, -v50                              // 000000003A04: D1CB0062 84C88162
	v_fma_f32 v99, v99, s64, -v50                              // 000000003A0C: D1CB0063 84C88163
	v_fma_f32 v100, v100, s64, -v50                            // 000000003A14: D1CB0064 84C88164
	v_fma_f32 v101, v101, s64, -v50                            // 000000003A1C: D1CB0065 84C88165
	v_fma_f32 v102, v102, s64, -v50                            // 000000003A24: D1CB0066 84C88166
	v_fma_f32 v103, v103, s64, -v50                            // 000000003A2C: D1CB0067 84C88167
	v_exp_f32_e32 v96, v96                                     // 000000003A34: 7EC04160
	v_exp_f32_e32 v97, v97                                     // 000000003A38: 7EC24161
	v_exp_f32_e32 v98, v98                                     // 000000003A3C: 7EC44162
	v_exp_f32_e32 v99, v99                                     // 000000003A40: 7EC64163
	v_exp_f32_e32 v100, v100                                   // 000000003A44: 7EC84164
	v_exp_f32_e32 v101, v101                                   // 000000003A48: 7ECA4165
	v_exp_f32_e32 v102, v102                                   // 000000003A4C: 7ECC4166
	v_exp_f32_e32 v103, v103                                   // 000000003A50: 7ECE4167
	buffer_load_dwordx4 a[196:199], v145, s[20:23], 0 offen    // 000000003A54: E05C1000 8085C491
	v_mul_f32_e32 v42, v49, v42                                // 000000003A5C: 0A545531
	v_mov_b32_e32 v43, v96                                     // 000000003A60: 7E560360
	v_add_f32_e32 v43, v97, v43                                // 000000003A64: 02565761
	v_add_f32_e32 v43, v98, v43                                // 000000003A68: 02565762
	v_add_f32_e32 v43, v99, v43                                // 000000003A6C: 02565763
	v_add_f32_e32 v43, v100, v43                               // 000000003A70: 02565764
	v_add_f32_e32 v43, v101, v43                               // 000000003A74: 02565765
	v_add_f32_e32 v43, v102, v43                               // 000000003A78: 02565766
	v_add_f32_e32 v43, v103, v43                               // 000000003A7C: 02565767
	v_add_f32_e32 v42, v43, v42                                // 000000003A80: 0254552B
	buffer_load_dwordx4 a[200:203], v146, s[20:23], 0 offen    // 000000003A84: E05C1000 8085C892
	v_cvt_pkrtz_f16_f32 v38, v96, v97                          // 000000003A8C: D2960026 0002C360
	v_mov_b32_e32 v96, v38                                     // 000000003A94: 7EC00326
	v_cvt_pkrtz_f16_f32 v38, v98, v99                          // 000000003A98: D2960026 0002C762
	v_mov_b32_e32 v97, v38                                     // 000000003AA0: 7EC20326
	v_cvt_pkrtz_f16_f32 v38, v100, v101                        // 000000003AA4: D2960026 0002CB64
	v_mov_b32_e32 v98, v38                                     // 000000003AAC: 7EC40326
	v_cvt_pkrtz_f16_f32 v38, v102, v103                        // 000000003AB0: D2960026 0002CF66
	v_mov_b32_e32 v99, v38                                     // 000000003AB8: 7EC60326
	buffer_load_dwordx4 a[204:207], v147, s[20:23], 0 offen    // 000000003ABC: E05C1000 8085CC93
	buffer_load_dwordx4 a[208:211], v148, s[20:23], 0 offen    // 000000003AC4: E05C1000 8085D094
	ds_write_b64 v13, v[96:97] offset:5248                     // 000000003ACC: D89A1480 0000600D
	ds_write_b64 v13, v[98:99] offset:7296                     // 000000003AD4: D89A1C80 0000620D
	buffer_load_dwordx4 a[212:215], v149, s[20:23], 0 offen    // 000000003ADC: E05C1000 8085D495
	s_waitcnt lgkmcnt(0)                                       // 000000003AE4: BF8CC07F
	s_barrier                                                  // 000000003AE8: BF8A0000
	ds_read_b64 v[96:97], v12 offset:5248                      // 000000003AEC: D8EC1480 6000000C
	ds_read_b64 v[98:99], v12 offset:5376                      // 000000003AF4: D8EC1500 6200000C
	ds_read_b64 v[100:101], v12 offset:6272                    // 000000003AFC: D8EC1880 6400000C
	ds_read_b64 v[102:103], v12 offset:6400                    // 000000003B04: D8EC1900 6600000C
	ds_read_b64 v[104:105], v12 offset:7296                    // 000000003B0C: D8EC1C80 6800000C
	ds_read_b64 v[106:107], v12 offset:7424                    // 000000003B14: D8EC1D00 6A00000C
	ds_read_b64 v[108:109], v12 offset:8320                    // 000000003B1C: D8EC2080 6C00000C
	ds_read_b64 v[110:111], v12 offset:8448                    // 000000003B24: D8EC2100 6E00000C
	buffer_load_dwordx4 a[216:219], v150, s[20:23], 0 offen    // 000000003B2C: E05C1000 8085D896
	s_waitcnt lgkmcnt(0)                                       // 000000003B34: BF8CC07F
	v_mov_b32_dpp v112, v96 row_shl:8 row_mask:0xf bank_mask:0xf bound_ctrl:1// 000000003B38: 7EE002FA FF090860
	v_and_b32_e32 v96, v96, v9                                 // 000000003B40: 26C01360
	v_mov_b32_dpp v113, v97 row_shl:8 row_mask:0xf bank_mask:0xf bound_ctrl:1// 000000003B44: 7EE202FA FF090861
	v_and_b32_e32 v97, v97, v9                                 // 000000003B4C: 26C21361
	v_mov_b32_dpp v114, v98 row_shl:8 row_mask:0xf bank_mask:0xf bound_ctrl:1// 000000003B50: 7EE402FA FF090862
	v_and_b32_e32 v98, v98, v9                                 // 000000003B58: 26C41362
	v_mov_b32_dpp v115, v99 row_shl:8 row_mask:0xf bank_mask:0xf bound_ctrl:1// 000000003B5C: 7EE602FA FF090863
	v_and_b32_e32 v99, v99, v9                                 // 000000003B64: 26C61363
	v_mov_b32_dpp v116, v100 row_shl:8 row_mask:0xf bank_mask:0xf bound_ctrl:1// 000000003B68: 7EE802FA FF090864
	v_and_b32_e32 v100, v100, v9                               // 000000003B70: 26C81364
	v_mov_b32_dpp v117, v101 row_shl:8 row_mask:0xf bank_mask:0xf bound_ctrl:1// 000000003B74: 7EEA02FA FF090865
	v_and_b32_e32 v101, v101, v9                               // 000000003B7C: 26CA1365
	v_mov_b32_dpp v118, v102 row_shl:8 row_mask:0xf bank_mask:0xf bound_ctrl:1// 000000003B80: 7EEC02FA FF090866
	v_and_b32_e32 v102, v102, v9                               // 000000003B88: 26CC1366
	v_mov_b32_dpp v119, v103 row_shl:8 row_mask:0xf bank_mask:0xf bound_ctrl:1// 000000003B8C: 7EEE02FA FF090867
	v_and_b32_e32 v103, v103, v9                               // 000000003B94: 26CE1367
	v_mov_b32_dpp v120, v104 row_shl:8 row_mask:0xf bank_mask:0xf bound_ctrl:1// 000000003B98: 7EF002FA FF090868
	v_and_b32_e32 v104, v104, v9                               // 000000003BA0: 26D01368
	v_mov_b32_dpp v121, v105 row_shl:8 row_mask:0xf bank_mask:0xf bound_ctrl:1// 000000003BA4: 7EF202FA FF090869
	v_and_b32_e32 v105, v105, v9                               // 000000003BAC: 26D21369
	v_mov_b32_dpp v122, v106 row_shl:8 row_mask:0xf bank_mask:0xf bound_ctrl:1// 000000003BB0: 7EF402FA FF09086A
	v_and_b32_e32 v106, v106, v9                               // 000000003BB8: 26D4136A
	v_mov_b32_dpp v123, v107 row_shl:8 row_mask:0xf bank_mask:0xf bound_ctrl:1// 000000003BBC: 7EF602FA FF09086B
	v_and_b32_e32 v107, v107, v9                               // 000000003BC4: 26D6136B
	v_mov_b32_dpp v124, v108 row_shl:8 row_mask:0xf bank_mask:0xf bound_ctrl:1// 000000003BC8: 7EF802FA FF09086C
	v_and_b32_e32 v108, v108, v9                               // 000000003BD0: 26D8136C
	v_mov_b32_dpp v125, v109 row_shl:8 row_mask:0xf bank_mask:0xf bound_ctrl:1// 000000003BD4: 7EFA02FA FF09086D
	v_and_b32_e32 v109, v109, v9                               // 000000003BDC: 26DA136D
	v_mov_b32_dpp v126, v110 row_shl:8 row_mask:0xf bank_mask:0xf bound_ctrl:1// 000000003BE0: 7EFC02FA FF09086E
	v_and_b32_e32 v110, v110, v9                               // 000000003BE8: 26DC136E
	v_mov_b32_dpp v127, v111 row_shl:8 row_mask:0xf bank_mask:0xf bound_ctrl:1// 000000003BEC: 7EFE02FA FF09086F
	v_and_b32_e32 v111, v111, v9                               // 000000003BF4: 26DE136F
	buffer_load_dwordx4 a[220:223], v151, s[20:23], 0 offen    // 000000003BF8: E05C1000 8085DC97
	v_mul_f32_e32 v128, v49, v128                              // 000000003C00: 0B010131
	v_mul_f32_e32 v129, v49, v129                              // 000000003C04: 0B030331
	v_mul_f32_e32 v130, v49, v130                              // 000000003C08: 0B050531
	v_mul_f32_e32 v131, v49, v131                              // 000000003C0C: 0B070731
	v_mul_f32_e32 v132, v49, v132                              // 000000003C10: 0B090931
	v_mul_f32_e32 v133, v49, v133                              // 000000003C14: 0B0B0B31
	v_mul_f32_e32 v134, v49, v134                              // 000000003C18: 0B0D0D31
	v_mul_f32_e32 v135, v49, v135                              // 000000003C1C: 0B0F0F31
	s_waitcnt vmcnt(24)                                        // 000000003C20: BF8C4F78
	v_mfma_f32_16x16x16_f16 v[128:131], a[128:129], v[96:97], v[128:131]// 000000003C24: D3CD0080 0E02C180
	buffer_load_dwordx4 a[224:227], v144, s[20:23], 0 offen offset:1024// 000000003C2C: E05C1400 8085E090
	v_mfma_f32_16x16x16_f16 v[128:131], a[130:131], v[98:99], v[128:131]// 000000003C34: D3CD0080 0E02C582
	v_mfma_f32_16x16x16_f16 v[128:131], a[132:133], v[100:101], v[128:131]// 000000003C3C: D3CD0080 0E02C984
	v_mfma_f32_16x16x16_f16 v[128:131], a[134:135], v[102:103], v[128:131]// 000000003C44: D3CD0080 0E02CD86
	v_mfma_f32_16x16x16_f16 v[128:131], a[136:137], v[104:105], v[128:131]// 000000003C4C: D3CD0080 0E02D188
	buffer_load_dwordx4 a[228:231], v145, s[20:23], 0 offen offset:1024// 000000003C54: E05C1400 8085E491
	v_mfma_f32_16x16x16_f16 v[128:131], a[138:139], v[106:107], v[128:131]// 000000003C5C: D3CD0080 0E02D58A
	v_mfma_f32_16x16x16_f16 v[128:131], a[140:141], v[108:109], v[128:131]// 000000003C64: D3CD0080 0E02D98C
	v_mfma_f32_16x16x16_f16 v[128:131], a[142:143], v[110:111], v[128:131]// 000000003C6C: D3CD0080 0E02DD8E
	v_mfma_f32_16x16x16_f16 v[128:131], a[144:145], v[112:113], v[128:131]// 000000003C74: D3CD0080 0E02E190
	buffer_load_dwordx4 a[232:235], v146, s[20:23], 0 offen offset:1024// 000000003C7C: E05C1400 8085E892
	v_mfma_f32_16x16x16_f16 v[128:131], a[146:147], v[114:115], v[128:131]// 000000003C84: D3CD0080 0E02E592
	v_mfma_f32_16x16x16_f16 v[128:131], a[148:149], v[116:117], v[128:131]// 000000003C8C: D3CD0080 0E02E994
	v_mfma_f32_16x16x16_f16 v[128:131], a[150:151], v[118:119], v[128:131]// 000000003C94: D3CD0080 0E02ED96
	v_mfma_f32_16x16x16_f16 v[128:131], a[152:153], v[120:121], v[128:131]// 000000003C9C: D3CD0080 0E02F198
	buffer_load_dwordx4 a[236:239], v147, s[20:23], 0 offen offset:1024// 000000003CA4: E05C1400 8085EC93
	v_mfma_f32_16x16x16_f16 v[128:131], a[154:155], v[122:123], v[128:131]// 000000003CAC: D3CD0080 0E02F59A
	v_mfma_f32_16x16x16_f16 v[128:131], a[156:157], v[124:125], v[128:131]// 000000003CB4: D3CD0080 0E02F99C
	v_mfma_f32_16x16x16_f16 v[128:131], a[158:159], v[126:127], v[128:131]// 000000003CBC: D3CD0080 0E02FD9E
	v_mfma_f32_16x16x16_f16 v[132:135], a[160:161], v[96:97], v[132:135]// 000000003CC4: D3CD0084 0E12C1A0
	buffer_load_dwordx4 a[240:243], v148, s[20:23], 0 offen offset:1024// 000000003CCC: E05C1400 8085F094
	v_mfma_f32_16x16x16_f16 v[132:135], a[162:163], v[98:99], v[132:135]// 000000003CD4: D3CD0084 0E12C5A2
	v_mfma_f32_16x16x16_f16 v[132:135], a[164:165], v[100:101], v[132:135]// 000000003CDC: D3CD0084 0E12C9A4
	v_mfma_f32_16x16x16_f16 v[132:135], a[166:167], v[102:103], v[132:135]// 000000003CE4: D3CD0084 0E12CDA6
	v_mfma_f32_16x16x16_f16 v[132:135], a[168:169], v[104:105], v[132:135]// 000000003CEC: D3CD0084 0E12D1A8
	buffer_load_dwordx4 a[244:247], v149, s[20:23], 0 offen offset:1024// 000000003CF4: E05C1400 8085F495
	v_mfma_f32_16x16x16_f16 v[132:135], a[170:171], v[106:107], v[132:135]// 000000003CFC: D3CD0084 0E12D5AA
	v_mfma_f32_16x16x16_f16 v[132:135], a[172:173], v[108:109], v[132:135]// 000000003D04: D3CD0084 0E12D9AC
	v_mfma_f32_16x16x16_f16 v[132:135], a[174:175], v[110:111], v[132:135]// 000000003D0C: D3CD0084 0E12DDAE
	v_mfma_f32_16x16x16_f16 v[132:135], a[176:177], v[112:113], v[132:135]// 000000003D14: D3CD0084 0E12E1B0
	buffer_load_dwordx4 a[248:251], v150, s[20:23], 0 offen offset:1024// 000000003D1C: E05C1400 8085F896
	v_mfma_f32_16x16x16_f16 v[132:135], a[178:179], v[114:115], v[132:135]// 000000003D24: D3CD0084 0E12E5B2
	v_mfma_f32_16x16x16_f16 v[132:135], a[180:181], v[116:117], v[132:135]// 000000003D2C: D3CD0084 0E12E9B4
	v_mfma_f32_16x16x16_f16 v[132:135], a[182:183], v[118:119], v[132:135]// 000000003D34: D3CD0084 0E12EDB6
	v_mfma_f32_16x16x16_f16 v[132:135], a[184:185], v[120:121], v[132:135]// 000000003D3C: D3CD0084 0E12F1B8
	buffer_load_dwordx4 a[252:255], v151, s[20:23], 0 offen offset:1024// 000000003D44: E05C1400 8085FC97
	v_mfma_f32_16x16x16_f16 v[132:135], a[186:187], v[122:123], v[132:135]// 000000003D4C: D3CD0084 0E12F5BA
	v_mfma_f32_16x16x16_f16 v[132:135], a[188:189], v[124:125], v[132:135]// 000000003D54: D3CD0084 0E12F9BC
	v_mfma_f32_16x16x16_f16 v[132:135], a[190:191], v[126:127], v[132:135]// 000000003D5C: D3CD0084 0E12FDBE
	s_lshr_b32 s60, s70, 4                                     // 000000003D64: 8F3C8446
	s_add_u32 s60, 48, s60                                     // 000000003D68: 803C3CB0
	s_cmp_ge_u32 s60, s73                                      // 000000003D6C: BF09493C
	s_cselect_b32 s56, 0, s56                                  // 000000003D70: 85383880
	v_mul_u32_u24_dpp v38, v16, v51 row_newbcast:0 row_mask:0xf bank_mask:0xf// 000000003D74: 104C66FA FF015010
	v_mul_u32_u24_dpp v39, v16, v51 row_newbcast:4 row_mask:0xf bank_mask:0xf// 000000003D7C: 104E66FA FF015410
	v_mul_u32_u24_dpp v40, v16, v51 row_newbcast:8 row_mask:0xf bank_mask:0xf// 000000003D84: 105066FA FF015810
	v_mul_u32_u24_dpp v41, v16, v51 row_newbcast:12 row_mask:0xf bank_mask:0xf// 000000003D8C: 105266FA FF015C10
	v_add_u32_e32 v22, v38, v6                                 // 000000003D94: 682C0D26
	v_add_u32_e32 v23, v39, v6                                 // 000000003D98: 682E0D27
	v_add_u32_e32 v24, v40, v6                                 // 000000003D9C: 68300D28
	v_add_u32_e32 v25, v41, v6                                 // 000000003DA0: 68320D29
	v_mul_u32_u24_dpp v38, v16, v51 row_newbcast:1 row_mask:0xf bank_mask:0xf// 000000003DA4: 104C66FA FF015110
	v_mul_u32_u24_dpp v39, v16, v51 row_newbcast:2 row_mask:0xf bank_mask:0xf// 000000003DAC: 104E66FA FF015210
	v_mul_u32_u24_dpp v40, v16, v51 row_newbcast:5 row_mask:0xf bank_mask:0xf// 000000003DB4: 105066FA FF015510
	v_mul_u32_u24_dpp v41, v16, v51 row_newbcast:6 row_mask:0xf bank_mask:0xf// 000000003DBC: 105266FA FF015610
	v_add_u32_e32 v136, v38, v7                                // 000000003DC4: 69100F26
	v_add_u32_e32 v137, v39, v7                                // 000000003DC8: 69120F27
	v_add_u32_e32 v138, v40, v7                                // 000000003DCC: 69140F28
	v_add_u32_e32 v139, v41, v7                                // 000000003DD0: 69160F29
	v_mul_u32_u24_dpp v38, v16, v51 row_newbcast:9 row_mask:0xf bank_mask:0xf// 000000003DD4: 104C66FA FF015910
	v_mul_u32_u24_dpp v39, v16, v51 row_newbcast:10 row_mask:0xf bank_mask:0xf// 000000003DDC: 104E66FA FF015A10
	v_mul_u32_u24_dpp v40, v16, v51 row_newbcast:13 row_mask:0xf bank_mask:0xf// 000000003DE4: 105066FA FF015D10
	v_mul_u32_u24_dpp v41, v16, v51 row_newbcast:7 row_mask:0xf bank_mask:0xf// 000000003DEC: 105266FA FF015710
	v_add_u32_e32 v140, v38, v7                                // 000000003DF4: 69180F26
	v_add_u32_e32 v141, v39, v7                                // 000000003DF8: 691A0F27
	v_add_u32_e32 v142, v40, v7                                // 000000003DFC: 691C0F28
	v_add_u32_e32 v143, v41, v7                                // 000000003E00: 691E0F29
	v_add_u32_e32 v1, s56, v1                                  // 000000003E04: 68020238
	s_addk_i32 s70, 0x100                                      // 000000003E08: B7460100
	s_cmp_lt_i32 s70, s71                                      // 000000003E0C: BF044746
	s_cbranch_scc0 label_0538                                  // 000000003E10: BF84FE33
	s_waitcnt vmcnt(16) lgkmcnt(0)                             // 000000003E14: BF8C4070
	v_mfma_f32_16x16x16_f16 v[96:99], a[64:65], v[80:81], 0    // 000000003E18: D3CD0060 0A02A140
	buffer_load_dwordx4 a[0:3], v22, s[16:19], 0 offen         // 000000003E20: E05C1000 80840016
	v_mfma_f32_16x16x16_f16 v[96:99], a[66:67], v[82:83], v[96:99]// 000000003E28: D3CD0060 0D82A542
	v_mfma_f32_16x16x16_f16 v[96:99], a[68:69], v[84:85], v[96:99]// 000000003E30: D3CD0060 0D82A944
	buffer_load_dword v17, v1, s[24:27], 0 offen               // 000000003E38: E0501000 80061101
	v_mfma_f32_16x16x16_f16 v[96:99], a[70:71], v[86:87], v[96:99]// 000000003E40: D3CD0060 0D82AD46
	v_mfma_f32_16x16x16_f16 v[96:99], a[72:73], v[88:89], v[96:99]// 000000003E48: D3CD0060 0D82B148
	buffer_load_dwordx4 a[4:7], v22, s[16:19], 0 offen offset:1024// 000000003E50: E05C1400 80840416
	v_mfma_f32_16x16x16_f16 v[96:99], a[74:75], v[90:91], v[96:99]// 000000003E58: D3CD0060 0D82B54A
	v_mfma_f32_16x16x16_f16 v[96:99], a[76:77], v[92:93], v[96:99]// 000000003E60: D3CD0060 0D82B94C
	v_mfma_f32_16x16x16_f16 v[96:99], a[78:79], v[94:95], v[96:99]// 000000003E68: D3CD0060 0D82BD4E
	v_mfma_f32_16x16x16_f16 v[100:103], a[80:81], v[80:81], 0  // 000000003E70: D3CD0064 0A02A150
	buffer_load_dwordx4 a[8:11], v22, s[16:19], 0 offen offset:2048// 000000003E78: E05C1800 80840816
	v_mfma_f32_16x16x16_f16 v[100:103], a[82:83], v[82:83], v[100:103]// 000000003E80: D3CD0064 0D92A552
	v_mfma_f32_16x16x16_f16 v[100:103], a[84:85], v[84:85], v[100:103]// 000000003E88: D3CD0064 0D92A954
	v_mfma_f32_16x16x16_f16 v[100:103], a[86:87], v[86:87], v[100:103]// 000000003E90: D3CD0064 0D92AD56
	v_mfma_f32_16x16x16_f16 v[100:103], a[88:89], v[88:89], v[100:103]// 000000003E98: D3CD0064 0D92B158
	buffer_load_dwordx4 a[12:15], v22, s[16:19], 0 offen offset:3072// 000000003EA0: E05C1C00 80840C16
	v_mfma_f32_16x16x16_f16 v[100:103], a[90:91], v[90:91], v[100:103]// 000000003EA8: D3CD0064 0D92B55A
	v_mfma_f32_16x16x16_f16 v[100:103], a[92:93], v[92:93], v[100:103]// 000000003EB0: D3CD0064 0D92B95C
	v_mfma_f32_16x16x16_f16 v[100:103], a[94:95], v[94:95], v[100:103]// 000000003EB8: D3CD0064 0D92BD5E
	v_mfma_f32_16x16x16_f16 v[104:107], a[96:97], v[80:81], 0  // 000000003EC0: D3CD0068 0A02A160
	buffer_load_dwordx4 a[16:19], v23, s[16:19], 0 offen       // 000000003EC8: E05C1000 80841017
	v_mfma_f32_16x16x16_f16 v[104:107], a[98:99], v[82:83], v[104:107]// 000000003ED0: D3CD0068 0DA2A562
	v_mfma_f32_16x16x16_f16 v[104:107], a[100:101], v[84:85], v[104:107]// 000000003ED8: D3CD0068 0DA2A964
	v_mfma_f32_16x16x16_f16 v[104:107], a[102:103], v[86:87], v[104:107]// 000000003EE0: D3CD0068 0DA2AD66
	v_mfma_f32_16x16x16_f16 v[104:107], a[104:105], v[88:89], v[104:107]// 000000003EE8: D3CD0068 0DA2B168
	buffer_load_dwordx4 a[20:23], v23, s[16:19], 0 offen offset:1024// 000000003EF0: E05C1400 80841417
	v_mfma_f32_16x16x16_f16 v[104:107], a[106:107], v[90:91], v[104:107]// 000000003EF8: D3CD0068 0DA2B56A
	v_mfma_f32_16x16x16_f16 v[104:107], a[108:109], v[92:93], v[104:107]// 000000003F00: D3CD0068 0DA2B96C
	v_mfma_f32_16x16x16_f16 v[104:107], a[110:111], v[94:95], v[104:107]// 000000003F08: D3CD0068 0DA2BD6E
	v_mfma_f32_16x16x16_f16 v[108:111], a[112:113], v[80:81], 0// 000000003F10: D3CD006C 0A02A170
	buffer_load_dwordx4 a[24:27], v23, s[16:19], 0 offen offset:2048// 000000003F18: E05C1800 80841817
	v_mfma_f32_16x16x16_f16 v[108:111], a[114:115], v[82:83], v[108:111]// 000000003F20: D3CD006C 0DB2A572
	v_mfma_f32_16x16x16_f16 v[108:111], a[116:117], v[84:85], v[108:111]// 000000003F28: D3CD006C 0DB2A974
	v_mfma_f32_16x16x16_f16 v[108:111], a[118:119], v[86:87], v[108:111]// 000000003F30: D3CD006C 0DB2AD76
	v_mfma_f32_16x16x16_f16 v[108:111], a[120:121], v[88:89], v[108:111]// 000000003F38: D3CD006C 0DB2B178
	buffer_load_dwordx4 a[28:31], v23, s[16:19], 0 offen offset:3072// 000000003F40: E05C1C00 80841C17
	v_mfma_f32_16x16x16_f16 v[108:111], a[122:123], v[90:91], v[108:111]// 000000003F48: D3CD006C 0DB2B57A
	v_mfma_f32_16x16x16_f16 v[108:111], a[124:125], v[92:93], v[108:111]// 000000003F50: D3CD006C 0DB2B97C
	v_mfma_f32_16x16x16_f16 v[108:111], a[126:127], v[94:95], v[108:111]// 000000003F58: D3CD006C 0DB2BD7E
	buffer_load_dwordx4 a[32:35], v24, s[16:19], 0 offen       // 000000003F60: E05C1000 80842018
	s_nop 8                                                    // 000000003F68: BF800008
	v_or_b32_dpp v96, v104, v96 row_shr:8 row_mask:0xf bank_mask:0xf bound_ctrl:1// 000000003F6C: 28C0C0FA FF091868
	v_or_b32_dpp v97, v105, v97 row_shr:8 row_mask:0xf bank_mask:0xf bound_ctrl:1// 000000003F74: 28C2C2FA FF091869
	v_or_b32_dpp v98, v106, v98 row_shr:8 row_mask:0xf bank_mask:0xf bound_ctrl:1// 000000003F7C: 28C4C4FA FF09186A
	v_or_b32_dpp v99, v107, v99 row_shr:8 row_mask:0xf bank_mask:0xf bound_ctrl:1// 000000003F84: 28C6C6FA FF09186B
	v_or_b32_dpp v100, v108, v100 row_shr:8 row_mask:0xf bank_mask:0xf bound_ctrl:1// 000000003F8C: 28C8C8FA FF09186C
	v_or_b32_dpp v101, v109, v101 row_shr:8 row_mask:0xf bank_mask:0xf bound_ctrl:1// 000000003F94: 28CACAFA FF09186D
	v_or_b32_dpp v102, v110, v102 row_shr:8 row_mask:0xf bank_mask:0xf bound_ctrl:1// 000000003F9C: 28CCCCFA FF09186E
	v_or_b32_dpp v103, v111, v103 row_shr:8 row_mask:0xf bank_mask:0xf bound_ctrl:1// 000000003FA4: 28CECEFA FF09186F
	buffer_load_dwordx4 a[36:39], v24, s[16:19], 0 offen offset:1024// 000000003FAC: E05C1400 80842418
	v_mov_b32_e32 v48, v96                                     // 000000003FB4: 7E600360
	v_max3_f32 v48, v96, v97, v48                              // 000000003FB8: D1D30030 04C2C360
	v_max3_f32 v48, v98, v99, v48                              // 000000003FC0: D1D30030 04C2C762
	v_max3_f32 v48, v100, v101, v48                            // 000000003FC8: D1D30030 04C2CB64
	v_max3_f32 v48, v102, v103, v48                            // 000000003FD0: D1D30030 04C2CF66
	ds_write_b32 v11, v48 offset:4224                          // 000000003FD8: D81A1080 0000300B
	buffer_load_dwordx4 a[40:43], v24, s[16:19], 0 offen offset:2048// 000000003FE0: E05C1800 80842818
	s_waitcnt lgkmcnt(0)                                       // 000000003FE8: BF8CC07F
	s_barrier                                                  // 000000003FEC: BF8A0000
	ds_read_b32 v64, v10 offset:4224                           // 000000003FF0: D86C1080 4000000A
	buffer_load_dwordx4 a[44:47], v24, s[16:19], 0 offen offset:3072// 000000003FF8: E05C1C00 80842C18
	ds_read_b32 v65, v10 offset:4288                           // 000000004000: D86C10C0 4100000A
	ds_read_b32 v66, v10 offset:4352                           // 000000004008: D86C1100 4200000A
	ds_read_b32 v67, v10 offset:4416                           // 000000004010: D86C1140 4300000A
	ds_read_b32 v68, v10 offset:4480                           // 000000004018: D86C1180 4400000A
	ds_read_b32 v69, v10 offset:4544                           // 000000004020: D86C11C0 4500000A
	ds_read_b32 v70, v10 offset:4608                           // 000000004028: D86C1200 4600000A
	ds_read_b32 v71, v10 offset:4672                           // 000000004030: D86C1240 4700000A
	ds_read_b32 v72, v10 offset:4736                           // 000000004038: D86C1280 4800000A
	buffer_load_dwordx4 a[48:51], v25, s[16:19], 0 offen       // 000000004040: E05C1000 80843019
	ds_read_b32 v73, v10 offset:4800                           // 000000004048: D86C12C0 4900000A
	ds_read_b32 v74, v10 offset:4864                           // 000000004050: D86C1300 4A00000A
	ds_read_b32 v75, v10 offset:4928                           // 000000004058: D86C1340 4B00000A
	ds_read_b32 v76, v10 offset:4992                           // 000000004060: D86C1380 4C00000A
	ds_read_b32 v77, v10 offset:5056                           // 000000004068: D86C13C0 4D00000A
	ds_read_b32 v78, v10 offset:5120                           // 000000004070: D86C1400 4E00000A
	ds_read_b32 v79, v10 offset:5184                           // 000000004078: D86C1440 4F00000A
	buffer_load_dwordx4 a[52:55], v25, s[16:19], 0 offen offset:1024// 000000004080: E05C1400 80843419
	buffer_load_dwordx4 a[56:59], v25, s[16:19], 0 offen offset:2048// 000000004088: E05C1800 80843819
	s_waitcnt lgkmcnt(0)                                       // 000000004090: BF8CC07F
	v_max3_f32 v48, v64, v65, v48                              // 000000004094: D1D30030 04C28340
	v_max3_f32 v48, v66, v67, v48                              // 00000000409C: D1D30030 04C28742
	v_max3_f32 v48, v68, v69, v48                              // 0000000040A4: D1D30030 04C28B44
	v_max3_f32 v48, v70, v71, v48                              // 0000000040AC: D1D30030 04C28F46
	v_max3_f32 v48, v72, v73, v48                              // 0000000040B4: D1D30030 04C29348
	v_max3_f32 v48, v74, v75, v48                              // 0000000040BC: D1D30030 04C2974A
	v_max3_f32 v48, v76, v77, v48                              // 0000000040C4: D1D30030 04C29B4C
	v_max3_f32 v48, v78, v79, v48                              // 0000000040CC: D1D30030 04C29F4E
	buffer_load_dwordx4 a[60:63], v25, s[16:19], 0 offen offset:3072// 0000000040D4: E05C1C00 80843C19
	v_cmp_eq_u32_e64 s[40:41], v52, v14                        // 0000000040DC: D0CA0028 00021D34
	s_nop 1                                                    // 0000000040E4: BF800001
	v_mov_b32_dpp v38, v48 row_ror:8 row_mask:0xf bank_mask:0xf// 0000000040E8: 7E4C02FA FF012830
	v_max_f32_e32 v48, v48, v38                                // 0000000040F0: 16604D30
	v_max_f32_e32 v15, v48, v14                                // 0000000040F4: 161E1D30
	v_sub_f32_e32 v49, v14, v15                                // 0000000040F8: 04621F0E
	v_cndmask_b32_e64 v49, v49, 0, s[40:41]                    // 0000000040FC: D1000031 00A10131
	v_mov_b32_e32 v14, v15                                     // 000000004104: 7E1C030F
	v_mul_f32_e32 v50, s64, v15                                // 000000004108: 0A641E40
	v_mul_f32_e32 v49, s64, v49                                // 00000000410C: 0A626240
	v_exp_f32_e32 v49, v49                                     // 000000004110: 7E624131
	buffer_load_dwordx4 a[128:131], v136, s[20:23], 0 offen    // 000000004114: E05C1000 80858088
	v_fma_f32 v96, v96, s64, -v50                              // 00000000411C: D1CB0060 84C88160
	v_fma_f32 v97, v97, s64, -v50                              // 000000004124: D1CB0061 84C88161
	v_fma_f32 v98, v98, s64, -v50                              // 00000000412C: D1CB0062 84C88162
	v_fma_f32 v99, v99, s64, -v50                              // 000000004134: D1CB0063 84C88163
	v_fma_f32 v100, v100, s64, -v50                            // 00000000413C: D1CB0064 84C88164
	v_fma_f32 v101, v101, s64, -v50                            // 000000004144: D1CB0065 84C88165
	v_fma_f32 v102, v102, s64, -v50                            // 00000000414C: D1CB0066 84C88166
	v_fma_f32 v103, v103, s64, -v50                            // 000000004154: D1CB0067 84C88167
	v_exp_f32_e32 v96, v96                                     // 00000000415C: 7EC04160
	v_exp_f32_e32 v97, v97                                     // 000000004160: 7EC24161
	v_exp_f32_e32 v98, v98                                     // 000000004164: 7EC44162
	v_exp_f32_e32 v99, v99                                     // 000000004168: 7EC64163
	v_exp_f32_e32 v100, v100                                   // 00000000416C: 7EC84164
	v_exp_f32_e32 v101, v101                                   // 000000004170: 7ECA4165
	v_exp_f32_e32 v102, v102                                   // 000000004174: 7ECC4166
	v_exp_f32_e32 v103, v103                                   // 000000004178: 7ECE4167
	buffer_load_dwordx4 a[132:135], v137, s[20:23], 0 offen    // 00000000417C: E05C1000 80858489
	v_mul_f32_e32 v42, v49, v42                                // 000000004184: 0A545531
	v_mov_b32_e32 v43, v96                                     // 000000004188: 7E560360
	v_add_f32_e32 v43, v97, v43                                // 00000000418C: 02565761
	v_add_f32_e32 v43, v98, v43                                // 000000004190: 02565762
	v_add_f32_e32 v43, v99, v43                                // 000000004194: 02565763
	v_add_f32_e32 v43, v100, v43                               // 000000004198: 02565764
	v_add_f32_e32 v43, v101, v43                               // 00000000419C: 02565765
	v_add_f32_e32 v43, v102, v43                               // 0000000041A0: 02565766
	v_add_f32_e32 v43, v103, v43                               // 0000000041A4: 02565767
	v_add_f32_e32 v42, v43, v42                                // 0000000041A8: 0254552B
	buffer_load_dwordx4 a[136:139], v138, s[20:23], 0 offen    // 0000000041AC: E05C1000 8085888A
	v_cvt_pkrtz_f16_f32 v38, v96, v97                          // 0000000041B4: D2960026 0002C360
	v_mov_b32_e32 v96, v38                                     // 0000000041BC: 7EC00326
	v_cvt_pkrtz_f16_f32 v38, v98, v99                          // 0000000041C0: D2960026 0002C762
	v_mov_b32_e32 v97, v38                                     // 0000000041C8: 7EC20326
	v_cvt_pkrtz_f16_f32 v38, v100, v101                        // 0000000041CC: D2960026 0002CB64
	v_mov_b32_e32 v98, v38                                     // 0000000041D4: 7EC40326
	v_cvt_pkrtz_f16_f32 v38, v102, v103                        // 0000000041D8: D2960026 0002CF66
	v_mov_b32_e32 v99, v38                                     // 0000000041E0: 7EC60326
	buffer_load_dwordx4 a[140:143], v139, s[20:23], 0 offen    // 0000000041E4: E05C1000 80858C8B
	buffer_load_dwordx4 a[144:147], v140, s[20:23], 0 offen    // 0000000041EC: E05C1000 8085908C
	ds_write_b64 v13, v[96:97] offset:5248                     // 0000000041F4: D89A1480 0000600D
	ds_write_b64 v13, v[98:99] offset:7296                     // 0000000041FC: D89A1C80 0000620D
	buffer_load_dwordx4 a[148:151], v141, s[20:23], 0 offen    // 000000004204: E05C1000 8085948D
	s_waitcnt lgkmcnt(0)                                       // 00000000420C: BF8CC07F
	s_barrier                                                  // 000000004210: BF8A0000
	ds_read_b64 v[96:97], v12 offset:5248                      // 000000004214: D8EC1480 6000000C
	ds_read_b64 v[98:99], v12 offset:5376                      // 00000000421C: D8EC1500 6200000C
	ds_read_b64 v[100:101], v12 offset:6272                    // 000000004224: D8EC1880 6400000C
	ds_read_b64 v[102:103], v12 offset:6400                    // 00000000422C: D8EC1900 6600000C
	ds_read_b64 v[104:105], v12 offset:7296                    // 000000004234: D8EC1C80 6800000C
	ds_read_b64 v[106:107], v12 offset:7424                    // 00000000423C: D8EC1D00 6A00000C
	ds_read_b64 v[108:109], v12 offset:8320                    // 000000004244: D8EC2080 6C00000C
	ds_read_b64 v[110:111], v12 offset:8448                    // 00000000424C: D8EC2100 6E00000C
	buffer_load_dwordx4 a[152:155], v142, s[20:23], 0 offen    // 000000004254: E05C1000 8085988E
	s_waitcnt lgkmcnt(0)                                       // 00000000425C: BF8CC07F
	v_mov_b32_dpp v112, v96 row_shl:8 row_mask:0xf bank_mask:0xf bound_ctrl:1// 000000004260: 7EE002FA FF090860
	v_and_b32_e32 v96, v96, v9                                 // 000000004268: 26C01360
	v_mov_b32_dpp v113, v97 row_shl:8 row_mask:0xf bank_mask:0xf bound_ctrl:1// 00000000426C: 7EE202FA FF090861
	v_and_b32_e32 v97, v97, v9                                 // 000000004274: 26C21361
	v_mov_b32_dpp v114, v98 row_shl:8 row_mask:0xf bank_mask:0xf bound_ctrl:1// 000000004278: 7EE402FA FF090862
	v_and_b32_e32 v98, v98, v9                                 // 000000004280: 26C41362
	v_mov_b32_dpp v115, v99 row_shl:8 row_mask:0xf bank_mask:0xf bound_ctrl:1// 000000004284: 7EE602FA FF090863
	v_and_b32_e32 v99, v99, v9                                 // 00000000428C: 26C61363
	v_mov_b32_dpp v116, v100 row_shl:8 row_mask:0xf bank_mask:0xf bound_ctrl:1// 000000004290: 7EE802FA FF090864
	v_and_b32_e32 v100, v100, v9                               // 000000004298: 26C81364
	v_mov_b32_dpp v117, v101 row_shl:8 row_mask:0xf bank_mask:0xf bound_ctrl:1// 00000000429C: 7EEA02FA FF090865
	v_and_b32_e32 v101, v101, v9                               // 0000000042A4: 26CA1365
	v_mov_b32_dpp v118, v102 row_shl:8 row_mask:0xf bank_mask:0xf bound_ctrl:1// 0000000042A8: 7EEC02FA FF090866
	v_and_b32_e32 v102, v102, v9                               // 0000000042B0: 26CC1366
	v_mov_b32_dpp v119, v103 row_shl:8 row_mask:0xf bank_mask:0xf bound_ctrl:1// 0000000042B4: 7EEE02FA FF090867
	v_and_b32_e32 v103, v103, v9                               // 0000000042BC: 26CE1367
	v_mov_b32_dpp v120, v104 row_shl:8 row_mask:0xf bank_mask:0xf bound_ctrl:1// 0000000042C0: 7EF002FA FF090868
	v_and_b32_e32 v104, v104, v9                               // 0000000042C8: 26D01368
	v_mov_b32_dpp v121, v105 row_shl:8 row_mask:0xf bank_mask:0xf bound_ctrl:1// 0000000042CC: 7EF202FA FF090869
	v_and_b32_e32 v105, v105, v9                               // 0000000042D4: 26D21369
	v_mov_b32_dpp v122, v106 row_shl:8 row_mask:0xf bank_mask:0xf bound_ctrl:1// 0000000042D8: 7EF402FA FF09086A
	v_and_b32_e32 v106, v106, v9                               // 0000000042E0: 26D4136A
	v_mov_b32_dpp v123, v107 row_shl:8 row_mask:0xf bank_mask:0xf bound_ctrl:1// 0000000042E4: 7EF602FA FF09086B
	v_and_b32_e32 v107, v107, v9                               // 0000000042EC: 26D6136B
	v_mov_b32_dpp v124, v108 row_shl:8 row_mask:0xf bank_mask:0xf bound_ctrl:1// 0000000042F0: 7EF802FA FF09086C
	v_and_b32_e32 v108, v108, v9                               // 0000000042F8: 26D8136C
	v_mov_b32_dpp v125, v109 row_shl:8 row_mask:0xf bank_mask:0xf bound_ctrl:1// 0000000042FC: 7EFA02FA FF09086D
	v_and_b32_e32 v109, v109, v9                               // 000000004304: 26DA136D
	v_mov_b32_dpp v126, v110 row_shl:8 row_mask:0xf bank_mask:0xf bound_ctrl:1// 000000004308: 7EFC02FA FF09086E
	v_and_b32_e32 v110, v110, v9                               // 000000004310: 26DC136E
	v_mov_b32_dpp v127, v111 row_shl:8 row_mask:0xf bank_mask:0xf bound_ctrl:1// 000000004314: 7EFE02FA FF09086F
	v_and_b32_e32 v111, v111, v9                               // 00000000431C: 26DE136F
	buffer_load_dwordx4 a[156:159], v143, s[20:23], 0 offen    // 000000004320: E05C1000 80859C8F
	v_mul_f32_e32 v128, v49, v128                              // 000000004328: 0B010131
	v_mul_f32_e32 v129, v49, v129                              // 00000000432C: 0B030331
	v_mul_f32_e32 v130, v49, v130                              // 000000004330: 0B050531
	v_mul_f32_e32 v131, v49, v131                              // 000000004334: 0B070731
	v_mul_f32_e32 v132, v49, v132                              // 000000004338: 0B090931
	v_mul_f32_e32 v133, v49, v133                              // 00000000433C: 0B0B0B31
	v_mul_f32_e32 v134, v49, v134                              // 000000004340: 0B0D0D31
	v_mul_f32_e32 v135, v49, v135                              // 000000004344: 0B0F0F31
	s_waitcnt vmcnt(24)                                        // 000000004348: BF8C4F78
	v_mfma_f32_16x16x16_f16 v[128:131], a[192:193], v[96:97], v[128:131]// 00000000434C: D3CD0080 0E02C1C0
	buffer_load_dwordx4 a[160:163], v136, s[20:23], 0 offen offset:1024// 000000004354: E05C1400 8085A088
	v_mfma_f32_16x16x16_f16 v[128:131], a[194:195], v[98:99], v[128:131]// 00000000435C: D3CD0080 0E02C5C2
	v_mfma_f32_16x16x16_f16 v[128:131], a[196:197], v[100:101], v[128:131]// 000000004364: D3CD0080 0E02C9C4
	v_mfma_f32_16x16x16_f16 v[128:131], a[198:199], v[102:103], v[128:131]// 00000000436C: D3CD0080 0E02CDC6
	v_mfma_f32_16x16x16_f16 v[128:131], a[200:201], v[104:105], v[128:131]// 000000004374: D3CD0080 0E02D1C8
	buffer_load_dwordx4 a[164:167], v137, s[20:23], 0 offen offset:1024// 00000000437C: E05C1400 8085A489
	v_mfma_f32_16x16x16_f16 v[128:131], a[202:203], v[106:107], v[128:131]// 000000004384: D3CD0080 0E02D5CA
	v_mfma_f32_16x16x16_f16 v[128:131], a[204:205], v[108:109], v[128:131]// 00000000438C: D3CD0080 0E02D9CC
	v_mfma_f32_16x16x16_f16 v[128:131], a[206:207], v[110:111], v[128:131]// 000000004394: D3CD0080 0E02DDCE
	v_mfma_f32_16x16x16_f16 v[128:131], a[208:209], v[112:113], v[128:131]// 00000000439C: D3CD0080 0E02E1D0
	buffer_load_dwordx4 a[168:171], v138, s[20:23], 0 offen offset:1024// 0000000043A4: E05C1400 8085A88A
	v_mfma_f32_16x16x16_f16 v[128:131], a[210:211], v[114:115], v[128:131]// 0000000043AC: D3CD0080 0E02E5D2
	v_mfma_f32_16x16x16_f16 v[128:131], a[212:213], v[116:117], v[128:131]// 0000000043B4: D3CD0080 0E02E9D4
	v_mfma_f32_16x16x16_f16 v[128:131], a[214:215], v[118:119], v[128:131]// 0000000043BC: D3CD0080 0E02EDD6
	v_mfma_f32_16x16x16_f16 v[128:131], a[216:217], v[120:121], v[128:131]// 0000000043C4: D3CD0080 0E02F1D8
	buffer_load_dwordx4 a[172:175], v139, s[20:23], 0 offen offset:1024// 0000000043CC: E05C1400 8085AC8B
	v_mfma_f32_16x16x16_f16 v[128:131], a[218:219], v[122:123], v[128:131]// 0000000043D4: D3CD0080 0E02F5DA
	v_mfma_f32_16x16x16_f16 v[128:131], a[220:221], v[124:125], v[128:131]// 0000000043DC: D3CD0080 0E02F9DC
	v_mfma_f32_16x16x16_f16 v[128:131], a[222:223], v[126:127], v[128:131]// 0000000043E4: D3CD0080 0E02FDDE
	v_mfma_f32_16x16x16_f16 v[132:135], a[224:225], v[96:97], v[132:135]// 0000000043EC: D3CD0084 0E12C1E0
	buffer_load_dwordx4 a[176:179], v140, s[20:23], 0 offen offset:1024// 0000000043F4: E05C1400 8085B08C
	v_mfma_f32_16x16x16_f16 v[132:135], a[226:227], v[98:99], v[132:135]// 0000000043FC: D3CD0084 0E12C5E2
	v_mfma_f32_16x16x16_f16 v[132:135], a[228:229], v[100:101], v[132:135]// 000000004404: D3CD0084 0E12C9E4
	v_mfma_f32_16x16x16_f16 v[132:135], a[230:231], v[102:103], v[132:135]// 00000000440C: D3CD0084 0E12CDE6
	v_mfma_f32_16x16x16_f16 v[132:135], a[232:233], v[104:105], v[132:135]// 000000004414: D3CD0084 0E12D1E8
	buffer_load_dwordx4 a[180:183], v141, s[20:23], 0 offen offset:1024// 00000000441C: E05C1400 8085B48D
	v_mfma_f32_16x16x16_f16 v[132:135], a[234:235], v[106:107], v[132:135]// 000000004424: D3CD0084 0E12D5EA
	v_mfma_f32_16x16x16_f16 v[132:135], a[236:237], v[108:109], v[132:135]// 00000000442C: D3CD0084 0E12D9EC
	v_mfma_f32_16x16x16_f16 v[132:135], a[238:239], v[110:111], v[132:135]// 000000004434: D3CD0084 0E12DDEE
	v_mfma_f32_16x16x16_f16 v[132:135], a[240:241], v[112:113], v[132:135]// 00000000443C: D3CD0084 0E12E1F0
	buffer_load_dwordx4 a[184:187], v142, s[20:23], 0 offen offset:1024// 000000004444: E05C1400 8085B88E
	v_mfma_f32_16x16x16_f16 v[132:135], a[242:243], v[114:115], v[132:135]// 00000000444C: D3CD0084 0E12E5F2
	v_mfma_f32_16x16x16_f16 v[132:135], a[244:245], v[116:117], v[132:135]// 000000004454: D3CD0084 0E12E9F4
	v_mfma_f32_16x16x16_f16 v[132:135], a[246:247], v[118:119], v[132:135]// 00000000445C: D3CD0084 0E12EDF6
	v_mfma_f32_16x16x16_f16 v[132:135], a[248:249], v[120:121], v[132:135]// 000000004464: D3CD0084 0E12F1F8
	buffer_load_dwordx4 a[188:191], v143, s[20:23], 0 offen offset:1024// 00000000446C: E05C1400 8085BC8F
	v_mfma_f32_16x16x16_f16 v[132:135], a[250:251], v[122:123], v[132:135]// 000000004474: D3CD0084 0E12F5FA
	v_mfma_f32_16x16x16_f16 v[132:135], a[252:253], v[124:125], v[132:135]// 00000000447C: D3CD0084 0E12F9FC
	v_mfma_f32_16x16x16_f16 v[132:135], a[254:255], v[126:127], v[132:135]// 000000004484: D3CD0084 0E12FDFE
	s_lshr_b32 s60, s70, 4                                     // 00000000448C: 8F3C8446
	s_add_u32 s60, 48, s60                                     // 000000004490: 803C3CB0
	s_cmp_ge_u32 s60, s73                                      // 000000004494: BF09493C
	s_cselect_b32 s56, 0, s56                                  // 000000004498: 85383880
	v_mul_u32_u24_dpp v38, v17, v51 row_newbcast:0 row_mask:0xf bank_mask:0xf// 00000000449C: 104C66FA FF015011
	v_mul_u32_u24_dpp v39, v17, v51 row_newbcast:4 row_mask:0xf bank_mask:0xf// 0000000044A4: 104E66FA FF015411
	v_mul_u32_u24_dpp v40, v17, v51 row_newbcast:8 row_mask:0xf bank_mask:0xf// 0000000044AC: 105066FA FF015811
	v_mul_u32_u24_dpp v41, v17, v51 row_newbcast:12 row_mask:0xf bank_mask:0xf// 0000000044B4: 105266FA FF015C11
	v_add_u32_e32 v26, v38, v6                                 // 0000000044BC: 68340D26
	v_add_u32_e32 v27, v39, v6                                 // 0000000044C0: 68360D27
	v_add_u32_e32 v28, v40, v6                                 // 0000000044C4: 68380D28
	v_add_u32_e32 v29, v41, v6                                 // 0000000044C8: 683A0D29
	v_mul_u32_u24_dpp v38, v17, v51 row_newbcast:1 row_mask:0xf bank_mask:0xf// 0000000044CC: 104C66FA FF015111
	v_mul_u32_u24_dpp v39, v17, v51 row_newbcast:2 row_mask:0xf bank_mask:0xf// 0000000044D4: 104E66FA FF015211
	v_mul_u32_u24_dpp v40, v17, v51 row_newbcast:5 row_mask:0xf bank_mask:0xf// 0000000044DC: 105066FA FF015511
	v_mul_u32_u24_dpp v41, v17, v51 row_newbcast:6 row_mask:0xf bank_mask:0xf// 0000000044E4: 105266FA FF015611
	v_add_u32_e32 v144, v38, v7                                // 0000000044EC: 69200F26
	v_add_u32_e32 v145, v39, v7                                // 0000000044F0: 69220F27
	v_add_u32_e32 v146, v40, v7                                // 0000000044F4: 69240F28
	v_add_u32_e32 v147, v41, v7                                // 0000000044F8: 69260F29
	v_mul_u32_u24_dpp v38, v17, v51 row_newbcast:9 row_mask:0xf bank_mask:0xf// 0000000044FC: 104C66FA FF015911
	v_mul_u32_u24_dpp v39, v17, v51 row_newbcast:10 row_mask:0xf bank_mask:0xf// 000000004504: 104E66FA FF015A11
	v_mul_u32_u24_dpp v40, v17, v51 row_newbcast:13 row_mask:0xf bank_mask:0xf// 00000000450C: 105066FA FF015D11
	v_mul_u32_u24_dpp v41, v17, v51 row_newbcast:7 row_mask:0xf bank_mask:0xf// 000000004514: 105266FA FF015711
	v_add_u32_e32 v148, v38, v7                                // 00000000451C: 69280F26
	v_add_u32_e32 v149, v39, v7                                // 000000004520: 692A0F27
	v_add_u32_e32 v150, v40, v7                                // 000000004524: 692C0F28
	v_add_u32_e32 v151, v41, v7                                // 000000004528: 692E0F29
	v_add_u32_e32 v1, s56, v1                                  // 00000000452C: 68020238
	s_addk_i32 s70, 0x100                                      // 000000004530: B7460100
	s_cmp_lt_i32 s70, s71                                      // 000000004534: BF044746
	s_cbranch_scc0 label_0538                                  // 000000004538: BF84FC69
	s_branch label_053B                                        // 00000000453C: BF82FC6B

0000000000004540 <label_08D0>:
	s_lshr_b32 s60, s71, 4                                     // 000000004540: 8F3C8447
	s_cmp_eq_i32 s60, s73                                      // 000000004544: BF00493C
	s_cbranch_scc1 label_0DEC                                  // 000000004548: BF850518
	s_and_b32 s60, s72, 0xff                                   // 00000000454C: 863CFF48 000000FF
	s_cmp_le_i32 s60, 64                                       // 000000004554: BF05C03C
	s_cbranch_scc0 label_0A50                                  // 000000004558: BF840178
	s_lshr_b32 s60, s71, 8                                     // 00000000455C: 8F3C8847
	s_and_b32 s60, s60, 1                                      // 000000004560: 863C813C
	s_cmp_eq_i32 s60, 1                                        // 000000004564: BF00813C
	s_cbranch_scc1 label_0995                                  // 000000004568: BF8500BA
	s_waitcnt vmcnt(16) lgkmcnt(0)                             // 00000000456C: BF8C4070
	v_mfma_f32_16x16x16_f16 v[96:99], a[0:1], v[80:81], 0      // 000000004570: D3CD0060 0A02A100
	v_mfma_f32_16x16x16_f16 v[96:99], a[2:3], v[82:83], v[96:99]// 000000004578: D3CD0060 0D82A502
	v_mfma_f32_16x16x16_f16 v[96:99], a[4:5], v[84:85], v[96:99]// 000000004580: D3CD0060 0D82A904
	v_mfma_f32_16x16x16_f16 v[96:99], a[6:7], v[86:87], v[96:99]// 000000004588: D3CD0060 0D82AD06
	v_mfma_f32_16x16x16_f16 v[96:99], a[8:9], v[88:89], v[96:99]// 000000004590: D3CD0060 0D82B108
	v_mfma_f32_16x16x16_f16 v[96:99], a[10:11], v[90:91], v[96:99]// 000000004598: D3CD0060 0D82B50A
	v_mfma_f32_16x16x16_f16 v[96:99], a[12:13], v[92:93], v[96:99]// 0000000045A0: D3CD0060 0D82B90C
	v_mfma_f32_16x16x16_f16 v[96:99], a[14:15], v[94:95], v[96:99]// 0000000045A8: D3CD0060 0D82BD0E
	s_and_b32 s60, s72, 0xff                                   // 0000000045B0: 863CFF48 000000FF
	v_mov_b32_e32 v53, s60                                     // 0000000045B8: 7E6A023C
	v_lshrrev_b32_e32 v30, 4, v0                               // 0000000045BC: 203C0084
	v_mul_i32_i24_e32 v30, 4, v30                              // 0000000045C0: 0C3C3C84
	s_mul_i32 s60, s7, 16                                      // 0000000045C4: 923C9007
	v_add_u32_e32 v30, s60, v30                                // 0000000045C8: 683C3C3C
	v_add_u32_e32 v31, 1, v30                                  // 0000000045CC: 683E3C81
	v_add_u32_e32 v32, 2, v30                                  // 0000000045D0: 68403C82
	v_add_u32_e32 v33, 3, v30                                  // 0000000045D4: 68423C83
	v_and_b32_e32 v38, v52, v9                                 // 0000000045D8: 264C1334
	v_cmp_lt_u32_e64 s[40:41], v30, v53                        // 0000000045DC: D0C90028 00026B1E
	v_add_u32_e32 v30, 64, v30                                 // 0000000045E4: 683C3CC0
	s_nop 0                                                    // 0000000045E8: BF800000
	v_cndmask_b32_e64 v96, v38, v96, s[40:41]                  // 0000000045EC: D1000060 00A2C126
	v_cmp_lt_u32_e64 s[40:41], v31, v53                        // 0000000045F4: D0C90028 00026B1F
	v_add_u32_e32 v31, 64, v31                                 // 0000000045FC: 683E3EC0
	s_nop 0                                                    // 000000004600: BF800000
	v_cndmask_b32_e64 v97, v38, v97, s[40:41]                  // 000000004604: D1000061 00A2C326
	v_cmp_lt_u32_e64 s[40:41], v32, v53                        // 00000000460C: D0C90028 00026B20
	v_add_u32_e32 v32, 64, v32                                 // 000000004614: 684040C0
	s_nop 0                                                    // 000000004618: BF800000
	v_cndmask_b32_e64 v98, v38, v98, s[40:41]                  // 00000000461C: D1000062 00A2C526
	v_cmp_lt_u32_e64 s[40:41], v33, v53                        // 000000004624: D0C90028 00026B21
	v_add_u32_e32 v33, 64, v33                                 // 00000000462C: 684242C0
	s_nop 0                                                    // 000000004630: BF800000
	v_cndmask_b32_e64 v99, v38, v99, s[40:41]                  // 000000004634: D1000063 00A2C726
	s_nop 1                                                    // 00000000463C: BF800001
	v_or_b32_dpp v96, v98, v96 row_shr:8 row_mask:0xf bank_mask:0xf bound_ctrl:1// 000000004640: 28C0C0FA FF091862
	v_or_b32_dpp v97, v99, v97 row_shr:8 row_mask:0xf bank_mask:0xf bound_ctrl:1// 000000004648: 28C2C2FA FF091863
	v_max_f32_e32 v48, v96, v97                                // 000000004650: 1660C360
	ds_write_b32 v11, v48 offset:4224                          // 000000004654: D81A1080 0000300B
	s_waitcnt lgkmcnt(0)                                       // 00000000465C: BF8CC07F
	s_barrier                                                  // 000000004660: BF8A0000
	ds_read_b32 v64, v10 offset:4224                           // 000000004664: D86C1080 4000000A
	ds_read_b32 v65, v10 offset:4288                           // 00000000466C: D86C10C0 4100000A
	ds_read_b32 v66, v10 offset:4352                           // 000000004674: D86C1100 4200000A
	ds_read_b32 v67, v10 offset:4416                           // 00000000467C: D86C1140 4300000A
	ds_read_b32 v68, v10 offset:4480                           // 000000004684: D86C1180 4400000A
	ds_read_b32 v69, v10 offset:4544                           // 00000000468C: D86C11C0 4500000A
	ds_read_b32 v70, v10 offset:4608                           // 000000004694: D86C1200 4600000A
	ds_read_b32 v71, v10 offset:4672                           // 00000000469C: D86C1240 4700000A
	ds_read_b32 v72, v10 offset:4736                           // 0000000046A4: D86C1280 4800000A
	ds_read_b32 v73, v10 offset:4800                           // 0000000046AC: D86C12C0 4900000A
	ds_read_b32 v74, v10 offset:4864                           // 0000000046B4: D86C1300 4A00000A
	ds_read_b32 v75, v10 offset:4928                           // 0000000046BC: D86C1340 4B00000A
	ds_read_b32 v76, v10 offset:4992                           // 0000000046C4: D86C1380 4C00000A
	ds_read_b32 v77, v10 offset:5056                           // 0000000046CC: D86C13C0 4D00000A
	ds_read_b32 v78, v10 offset:5120                           // 0000000046D4: D86C1400 4E00000A
	ds_read_b32 v79, v10 offset:5184                           // 0000000046DC: D86C1440 4F00000A
	s_waitcnt lgkmcnt(0)                                       // 0000000046E4: BF8CC07F
	v_max3_f32 v48, v64, v65, v48                              // 0000000046E8: D1D30030 04C28340
	v_max3_f32 v48, v66, v67, v48                              // 0000000046F0: D1D30030 04C28742
	v_max3_f32 v48, v68, v69, v48                              // 0000000046F8: D1D30030 04C28B44
	v_max3_f32 v48, v70, v71, v48                              // 000000004700: D1D30030 04C28F46
	v_max3_f32 v48, v72, v73, v48                              // 000000004708: D1D30030 04C29348
	v_max3_f32 v48, v74, v75, v48                              // 000000004710: D1D30030 04C2974A
	v_max3_f32 v48, v76, v77, v48                              // 000000004718: D1D30030 04C29B4C
	v_max3_f32 v48, v78, v79, v48                              // 000000004720: D1D30030 04C29F4E
	s_nop 1                                                    // 000000004728: BF800001
	v_mov_b32_dpp v38, v48 row_ror:8 row_mask:0xf bank_mask:0xf// 00000000472C: 7E4C02FA FF012830
	v_max_f32_e32 v48, v48, v38                                // 000000004734: 16604D30
	v_max_f32_e32 v15, v48, v14                                // 000000004738: 161E1D30
	v_sub_f32_e32 v49, v14, v15                                // 00000000473C: 04621F0E
	v_mov_b32_e32 v14, v15                                     // 000000004740: 7E1C030F
	v_mul_f32_e32 v50, s64, v15                                // 000000004744: 0A641E40
	v_mul_f32_e32 v49, s64, v49                                // 000000004748: 0A626240
	v_exp_f32_e32 v49, v49                                     // 00000000474C: 7E624131
	v_fma_f32 v96, v96, s64, -v50                              // 000000004750: D1CB0060 84C88160
	v_fma_f32 v97, v97, s64, -v50                              // 000000004758: D1CB0061 84C88161
	v_exp_f32_e32 v96, v96                                     // 000000004760: 7EC04160
	v_exp_f32_e32 v97, v97                                     // 000000004764: 7EC24161
	v_mul_f32_e32 v42, v49, v42                                // 000000004768: 0A545531
	v_mov_b32_e32 v43, v96                                     // 00000000476C: 7E560360
	v_add_f32_e32 v43, v97, v43                                // 000000004770: 02565761
	v_add_f32_e32 v42, v43, v42                                // 000000004774: 0254552B
	v_cvt_pkrtz_f16_f32 v38, v96, v97                          // 000000004778: D2960026 0002C360
	v_mov_b32_e32 v96, v38                                     // 000000004780: 7EC00326
	ds_write_b64 v13, v[96:97] offset:5248                     // 000000004784: D89A1480 0000600D
	s_waitcnt lgkmcnt(0)                                       // 00000000478C: BF8CC07F
	s_barrier                                                  // 000000004790: BF8A0000
	ds_read_b64 v[96:97], v12 offset:5248                      // 000000004794: D8EC1480 6000000C
	ds_read_b64 v[98:99], v12 offset:5376                      // 00000000479C: D8EC1500 6200000C
	ds_read_b64 v[100:101], v12 offset:6272                    // 0000000047A4: D8EC1880 6400000C
	ds_read_b64 v[102:103], v12 offset:6400                    // 0000000047AC: D8EC1900 6600000C
	s_waitcnt lgkmcnt(0)                                       // 0000000047B4: BF8CC07F
	v_mov_b32_dpp v97, v96 row_shl:8 row_mask:0xf bank_mask:0xf bound_ctrl:1// 0000000047B8: 7EC202FA FF090860
	v_and_b32_e32 v96, v96, v9                                 // 0000000047C0: 26C01360
	v_mov_b32_dpp v99, v98 row_shl:8 row_mask:0xf bank_mask:0xf bound_ctrl:1// 0000000047C4: 7EC602FA FF090862
	v_and_b32_e32 v98, v98, v9                                 // 0000000047CC: 26C41362
	v_mov_b32_dpp v101, v100 row_shl:8 row_mask:0xf bank_mask:0xf bound_ctrl:1// 0000000047D0: 7ECA02FA FF090864
	v_and_b32_e32 v100, v100, v9                               // 0000000047D8: 26C81364
	v_mov_b32_dpp v103, v102 row_shl:8 row_mask:0xf bank_mask:0xf bound_ctrl:1// 0000000047DC: 7ECE02FA FF090866
	v_and_b32_e32 v102, v102, v9                               // 0000000047E4: 26CC1366
	v_mul_f32_e32 v128, v49, v128                              // 0000000047E8: 0B010131
	v_mul_f32_e32 v129, v49, v129                              // 0000000047EC: 0B030331
	v_mul_f32_e32 v130, v49, v130                              // 0000000047F0: 0B050531
	v_mul_f32_e32 v131, v49, v131                              // 0000000047F4: 0B070731
	v_mul_f32_e32 v132, v49, v132                              // 0000000047F8: 0B090931
	v_mul_f32_e32 v133, v49, v133                              // 0000000047FC: 0B0B0B31
	v_mul_f32_e32 v134, v49, v134                              // 000000004800: 0B0D0D31
	v_mul_f32_e32 v135, v49, v135                              // 000000004804: 0B0F0F31
	s_waitcnt vmcnt(0)                                         // 000000004808: BF8C0F70
	v_mfma_f32_16x16x16_f16 v[128:131], a[128:129], v[96:97], v[128:131]// 00000000480C: D3CD0080 0E02C180
	v_mfma_f32_16x16x16_f16 v[128:131], a[130:131], v[98:99], v[128:131]// 000000004814: D3CD0080 0E02C582
	v_mfma_f32_16x16x16_f16 v[128:131], a[132:133], v[100:101], v[128:131]// 00000000481C: D3CD0080 0E02C984
	v_mfma_f32_16x16x16_f16 v[128:131], a[134:135], v[102:103], v[128:131]// 000000004824: D3CD0080 0E02CD86
	v_mfma_f32_16x16x16_f16 v[132:135], a[160:161], v[96:97], v[132:135]// 00000000482C: D3CD0084 0E12C1A0
	v_mfma_f32_16x16x16_f16 v[132:135], a[162:163], v[98:99], v[132:135]// 000000004834: D3CD0084 0E12C5A2
	v_mfma_f32_16x16x16_f16 v[132:135], a[164:165], v[100:101], v[132:135]// 00000000483C: D3CD0084 0E12C9A4
	v_mfma_f32_16x16x16_f16 v[132:135], a[166:167], v[102:103], v[132:135]// 000000004844: D3CD0084 0E12CDA6
	s_nop 8                                                    // 00000000484C: BF800008
	s_branch label_0DEC                                        // 000000004850: BF820456

0000000000004854 <label_0995>:
	s_waitcnt vmcnt(16) lgkmcnt(0)                             // 000000004854: BF8C4070
	v_mfma_f32_16x16x16_f16 v[96:99], a[64:65], v[80:81], 0    // 000000004858: D3CD0060 0A02A140
	v_mfma_f32_16x16x16_f16 v[96:99], a[66:67], v[82:83], v[96:99]// 000000004860: D3CD0060 0D82A542
	v_mfma_f32_16x16x16_f16 v[96:99], a[68:69], v[84:85], v[96:99]// 000000004868: D3CD0060 0D82A944
	v_mfma_f32_16x16x16_f16 v[96:99], a[70:71], v[86:87], v[96:99]// 000000004870: D3CD0060 0D82AD46
	v_mfma_f32_16x16x16_f16 v[96:99], a[72:73], v[88:89], v[96:99]// 000000004878: D3CD0060 0D82B148
	v_mfma_f32_16x16x16_f16 v[96:99], a[74:75], v[90:91], v[96:99]// 000000004880: D3CD0060 0D82B54A
	v_mfma_f32_16x16x16_f16 v[96:99], a[76:77], v[92:93], v[96:99]// 000000004888: D3CD0060 0D82B94C
	v_mfma_f32_16x16x16_f16 v[96:99], a[78:79], v[94:95], v[96:99]// 000000004890: D3CD0060 0D82BD4E
	s_and_b32 s60, s72, 0xff                                   // 000000004898: 863CFF48 000000FF
	v_mov_b32_e32 v53, s60                                     // 0000000048A0: 7E6A023C
	v_lshrrev_b32_e32 v30, 4, v0                               // 0000000048A4: 203C0084
	v_mul_i32_i24_e32 v30, 4, v30                              // 0000000048A8: 0C3C3C84
	s_mul_i32 s60, s7, 16                                      // 0000000048AC: 923C9007
	v_add_u32_e32 v30, s60, v30                                // 0000000048B0: 683C3C3C
	v_add_u32_e32 v31, 1, v30                                  // 0000000048B4: 683E3C81
	v_add_u32_e32 v32, 2, v30                                  // 0000000048B8: 68403C82
	v_add_u32_e32 v33, 3, v30                                  // 0000000048BC: 68423C83
	v_and_b32_e32 v38, v52, v9                                 // 0000000048C0: 264C1334
	v_cmp_lt_u32_e64 s[40:41], v30, v53                        // 0000000048C4: D0C90028 00026B1E
	v_add_u32_e32 v30, 64, v30                                 // 0000000048CC: 683C3CC0
	s_nop 0                                                    // 0000000048D0: BF800000
	v_cndmask_b32_e64 v96, v38, v96, s[40:41]                  // 0000000048D4: D1000060 00A2C126
	v_cmp_lt_u32_e64 s[40:41], v31, v53                        // 0000000048DC: D0C90028 00026B1F
	v_add_u32_e32 v31, 64, v31                                 // 0000000048E4: 683E3EC0
	s_nop 0                                                    // 0000000048E8: BF800000
	v_cndmask_b32_e64 v97, v38, v97, s[40:41]                  // 0000000048EC: D1000061 00A2C326
	v_cmp_lt_u32_e64 s[40:41], v32, v53                        // 0000000048F4: D0C90028 00026B20
	v_add_u32_e32 v32, 64, v32                                 // 0000000048FC: 684040C0
	s_nop 0                                                    // 000000004900: BF800000
	v_cndmask_b32_e64 v98, v38, v98, s[40:41]                  // 000000004904: D1000062 00A2C526
	v_cmp_lt_u32_e64 s[40:41], v33, v53                        // 00000000490C: D0C90028 00026B21
	v_add_u32_e32 v33, 64, v33                                 // 000000004914: 684242C0
	s_nop 0                                                    // 000000004918: BF800000
	v_cndmask_b32_e64 v99, v38, v99, s[40:41]                  // 00000000491C: D1000063 00A2C726
	s_nop 1                                                    // 000000004924: BF800001
	v_or_b32_dpp v96, v98, v96 row_shr:8 row_mask:0xf bank_mask:0xf bound_ctrl:1// 000000004928: 28C0C0FA FF091862
	v_or_b32_dpp v97, v99, v97 row_shr:8 row_mask:0xf bank_mask:0xf bound_ctrl:1// 000000004930: 28C2C2FA FF091863
	v_max_f32_e32 v48, v96, v97                                // 000000004938: 1660C360
	ds_write_b32 v11, v48 offset:4224                          // 00000000493C: D81A1080 0000300B
	s_waitcnt lgkmcnt(0)                                       // 000000004944: BF8CC07F
	s_barrier                                                  // 000000004948: BF8A0000
	ds_read_b32 v64, v10 offset:4224                           // 00000000494C: D86C1080 4000000A
	ds_read_b32 v65, v10 offset:4288                           // 000000004954: D86C10C0 4100000A
	ds_read_b32 v66, v10 offset:4352                           // 00000000495C: D86C1100 4200000A
	ds_read_b32 v67, v10 offset:4416                           // 000000004964: D86C1140 4300000A
	ds_read_b32 v68, v10 offset:4480                           // 00000000496C: D86C1180 4400000A
	ds_read_b32 v69, v10 offset:4544                           // 000000004974: D86C11C0 4500000A
	ds_read_b32 v70, v10 offset:4608                           // 00000000497C: D86C1200 4600000A
	ds_read_b32 v71, v10 offset:4672                           // 000000004984: D86C1240 4700000A
	ds_read_b32 v72, v10 offset:4736                           // 00000000498C: D86C1280 4800000A
	ds_read_b32 v73, v10 offset:4800                           // 000000004994: D86C12C0 4900000A
	ds_read_b32 v74, v10 offset:4864                           // 00000000499C: D86C1300 4A00000A
	ds_read_b32 v75, v10 offset:4928                           // 0000000049A4: D86C1340 4B00000A
	ds_read_b32 v76, v10 offset:4992                           // 0000000049AC: D86C1380 4C00000A
	ds_read_b32 v77, v10 offset:5056                           // 0000000049B4: D86C13C0 4D00000A
	ds_read_b32 v78, v10 offset:5120                           // 0000000049BC: D86C1400 4E00000A
	ds_read_b32 v79, v10 offset:5184                           // 0000000049C4: D86C1440 4F00000A
	s_waitcnt lgkmcnt(0)                                       // 0000000049CC: BF8CC07F
	v_max3_f32 v48, v64, v65, v48                              // 0000000049D0: D1D30030 04C28340
	v_max3_f32 v48, v66, v67, v48                              // 0000000049D8: D1D30030 04C28742
	v_max3_f32 v48, v68, v69, v48                              // 0000000049E0: D1D30030 04C28B44
	v_max3_f32 v48, v70, v71, v48                              // 0000000049E8: D1D30030 04C28F46
	v_max3_f32 v48, v72, v73, v48                              // 0000000049F0: D1D30030 04C29348
	v_max3_f32 v48, v74, v75, v48                              // 0000000049F8: D1D30030 04C2974A
	v_max3_f32 v48, v76, v77, v48                              // 000000004A00: D1D30030 04C29B4C
	v_max3_f32 v48, v78, v79, v48                              // 000000004A08: D1D30030 04C29F4E
	s_nop 1                                                    // 000000004A10: BF800001
	v_mov_b32_dpp v38, v48 row_ror:8 row_mask:0xf bank_mask:0xf// 000000004A14: 7E4C02FA FF012830
	v_max_f32_e32 v48, v48, v38                                // 000000004A1C: 16604D30
	v_max_f32_e32 v15, v48, v14                                // 000000004A20: 161E1D30
	v_sub_f32_e32 v49, v14, v15                                // 000000004A24: 04621F0E
	v_mov_b32_e32 v14, v15                                     // 000000004A28: 7E1C030F
	v_mul_f32_e32 v50, s64, v15                                // 000000004A2C: 0A641E40
	v_mul_f32_e32 v49, s64, v49                                // 000000004A30: 0A626240
	v_exp_f32_e32 v49, v49                                     // 000000004A34: 7E624131
	v_fma_f32 v96, v96, s64, -v50                              // 000000004A38: D1CB0060 84C88160
	v_fma_f32 v97, v97, s64, -v50                              // 000000004A40: D1CB0061 84C88161
	v_exp_f32_e32 v96, v96                                     // 000000004A48: 7EC04160
	v_exp_f32_e32 v97, v97                                     // 000000004A4C: 7EC24161
	v_mul_f32_e32 v42, v49, v42                                // 000000004A50: 0A545531
	v_mov_b32_e32 v43, v96                                     // 000000004A54: 7E560360
	v_add_f32_e32 v43, v97, v43                                // 000000004A58: 02565761
	v_add_f32_e32 v42, v43, v42                                // 000000004A5C: 0254552B
	v_cvt_pkrtz_f16_f32 v38, v96, v97                          // 000000004A60: D2960026 0002C360
	v_mov_b32_e32 v96, v38                                     // 000000004A68: 7EC00326
	ds_write_b64 v13, v[96:97] offset:5248                     // 000000004A6C: D89A1480 0000600D
	s_waitcnt lgkmcnt(0)                                       // 000000004A74: BF8CC07F
	s_barrier                                                  // 000000004A78: BF8A0000
	ds_read_b64 v[96:97], v12 offset:5248                      // 000000004A7C: D8EC1480 6000000C
	ds_read_b64 v[98:99], v12 offset:5376                      // 000000004A84: D8EC1500 6200000C
	ds_read_b64 v[100:101], v12 offset:6272                    // 000000004A8C: D8EC1880 6400000C
	ds_read_b64 v[102:103], v12 offset:6400                    // 000000004A94: D8EC1900 6600000C
	s_waitcnt lgkmcnt(0)                                       // 000000004A9C: BF8CC07F
	v_mov_b32_dpp v97, v96 row_shl:8 row_mask:0xf bank_mask:0xf bound_ctrl:1// 000000004AA0: 7EC202FA FF090860
	v_and_b32_e32 v96, v96, v9                                 // 000000004AA8: 26C01360
	v_mov_b32_dpp v99, v98 row_shl:8 row_mask:0xf bank_mask:0xf bound_ctrl:1// 000000004AAC: 7EC602FA FF090862
	v_and_b32_e32 v98, v98, v9                                 // 000000004AB4: 26C41362
	v_mov_b32_dpp v101, v100 row_shl:8 row_mask:0xf bank_mask:0xf bound_ctrl:1// 000000004AB8: 7ECA02FA FF090864
	v_and_b32_e32 v100, v100, v9                               // 000000004AC0: 26C81364
	v_mov_b32_dpp v103, v102 row_shl:8 row_mask:0xf bank_mask:0xf bound_ctrl:1// 000000004AC4: 7ECE02FA FF090866
	v_and_b32_e32 v102, v102, v9                               // 000000004ACC: 26CC1366
	v_mul_f32_e32 v128, v49, v128                              // 000000004AD0: 0B010131
	v_mul_f32_e32 v129, v49, v129                              // 000000004AD4: 0B030331
	v_mul_f32_e32 v130, v49, v130                              // 000000004AD8: 0B050531
	v_mul_f32_e32 v131, v49, v131                              // 000000004ADC: 0B070731
	v_mul_f32_e32 v132, v49, v132                              // 000000004AE0: 0B090931
	v_mul_f32_e32 v133, v49, v133                              // 000000004AE4: 0B0B0B31
	v_mul_f32_e32 v134, v49, v134                              // 000000004AE8: 0B0D0D31
	v_mul_f32_e32 v135, v49, v135                              // 000000004AEC: 0B0F0F31
	s_waitcnt vmcnt(0)                                         // 000000004AF0: BF8C0F70
	v_mfma_f32_16x16x16_f16 v[128:131], a[192:193], v[96:97], v[128:131]// 000000004AF4: D3CD0080 0E02C1C0
	v_mfma_f32_16x16x16_f16 v[128:131], a[194:195], v[98:99], v[128:131]// 000000004AFC: D3CD0080 0E02C5C2
	v_mfma_f32_16x16x16_f16 v[128:131], a[196:197], v[100:101], v[128:131]// 000000004B04: D3CD0080 0E02C9C4
	v_mfma_f32_16x16x16_f16 v[128:131], a[198:199], v[102:103], v[128:131]// 000000004B0C: D3CD0080 0E02CDC6
	v_mfma_f32_16x16x16_f16 v[132:135], a[224:225], v[96:97], v[132:135]// 000000004B14: D3CD0084 0E12C1E0
	v_mfma_f32_16x16x16_f16 v[132:135], a[226:227], v[98:99], v[132:135]// 000000004B1C: D3CD0084 0E12C5E2
	v_mfma_f32_16x16x16_f16 v[132:135], a[228:229], v[100:101], v[132:135]// 000000004B24: D3CD0084 0E12C9E4
	v_mfma_f32_16x16x16_f16 v[132:135], a[230:231], v[102:103], v[132:135]// 000000004B2C: D3CD0084 0E12CDE6
	s_nop 8                                                    // 000000004B34: BF800008
	s_branch label_0DEC                                        // 000000004B38: BF82039C

0000000000004b3c <label_0A50>:
	s_lshr_b32 s60, s71, 8                                     // 000000004B3C: 8F3C8847
	s_and_b32 s60, s60, 1                                      // 000000004B40: 863C813C
	s_cmp_eq_i32 s60, 1                                        // 000000004B44: BF00813C
	s_cbranch_scc1 label_0C20                                  // 000000004B48: BF8501CC
	s_waitcnt vmcnt(16) lgkmcnt(0)                             // 000000004B4C: BF8C4070
	s_barrier                                                  // 000000004B50: BF8A0000
	v_mfma_f32_16x16x16_f16 v[96:99], a[0:1], v[80:81], 0      // 000000004B54: D3CD0060 0A02A100
	v_mfma_f32_16x16x16_f16 v[96:99], a[2:3], v[82:83], v[96:99]// 000000004B5C: D3CD0060 0D82A502
	v_mfma_f32_16x16x16_f16 v[96:99], a[4:5], v[84:85], v[96:99]// 000000004B64: D3CD0060 0D82A904
	v_mfma_f32_16x16x16_f16 v[96:99], a[6:7], v[86:87], v[96:99]// 000000004B6C: D3CD0060 0D82AD06
	v_mfma_f32_16x16x16_f16 v[96:99], a[8:9], v[88:89], v[96:99]// 000000004B74: D3CD0060 0D82B108
	v_mfma_f32_16x16x16_f16 v[96:99], a[10:11], v[90:91], v[96:99]// 000000004B7C: D3CD0060 0D82B50A
	v_mfma_f32_16x16x16_f16 v[96:99], a[12:13], v[92:93], v[96:99]// 000000004B84: D3CD0060 0D82B90C
	v_mfma_f32_16x16x16_f16 v[96:99], a[14:15], v[94:95], v[96:99]// 000000004B8C: D3CD0060 0D82BD0E
	v_mfma_f32_16x16x16_f16 v[100:103], a[16:17], v[80:81], 0  // 000000004B94: D3CD0064 0A02A110
	v_mfma_f32_16x16x16_f16 v[100:103], a[18:19], v[82:83], v[100:103]// 000000004B9C: D3CD0064 0D92A512
	v_mfma_f32_16x16x16_f16 v[100:103], a[20:21], v[84:85], v[100:103]// 000000004BA4: D3CD0064 0D92A914
	v_mfma_f32_16x16x16_f16 v[100:103], a[22:23], v[86:87], v[100:103]// 000000004BAC: D3CD0064 0D92AD16
	v_mfma_f32_16x16x16_f16 v[100:103], a[24:25], v[88:89], v[100:103]// 000000004BB4: D3CD0064 0D92B118
	v_mfma_f32_16x16x16_f16 v[100:103], a[26:27], v[90:91], v[100:103]// 000000004BBC: D3CD0064 0D92B51A
	v_mfma_f32_16x16x16_f16 v[100:103], a[28:29], v[92:93], v[100:103]// 000000004BC4: D3CD0064 0D92B91C
	v_mfma_f32_16x16x16_f16 v[100:103], a[30:31], v[94:95], v[100:103]// 000000004BCC: D3CD0064 0D92BD1E
	v_mfma_f32_16x16x16_f16 v[104:107], a[32:33], v[80:81], 0  // 000000004BD4: D3CD0068 0A02A120
	v_mfma_f32_16x16x16_f16 v[104:107], a[34:35], v[82:83], v[104:107]// 000000004BDC: D3CD0068 0DA2A522
	v_mfma_f32_16x16x16_f16 v[104:107], a[36:37], v[84:85], v[104:107]// 000000004BE4: D3CD0068 0DA2A924
	v_mfma_f32_16x16x16_f16 v[104:107], a[38:39], v[86:87], v[104:107]// 000000004BEC: D3CD0068 0DA2AD26
	v_mfma_f32_16x16x16_f16 v[104:107], a[40:41], v[88:89], v[104:107]// 000000004BF4: D3CD0068 0DA2B128
	v_mfma_f32_16x16x16_f16 v[104:107], a[42:43], v[90:91], v[104:107]// 000000004BFC: D3CD0068 0DA2B52A
	v_mfma_f32_16x16x16_f16 v[104:107], a[44:45], v[92:93], v[104:107]// 000000004C04: D3CD0068 0DA2B92C
	v_mfma_f32_16x16x16_f16 v[104:107], a[46:47], v[94:95], v[104:107]// 000000004C0C: D3CD0068 0DA2BD2E
	v_mfma_f32_16x16x16_f16 v[108:111], a[48:49], v[80:81], 0  // 000000004C14: D3CD006C 0A02A130
	v_mfma_f32_16x16x16_f16 v[108:111], a[50:51], v[82:83], v[108:111]// 000000004C1C: D3CD006C 0DB2A532
	v_mfma_f32_16x16x16_f16 v[108:111], a[52:53], v[84:85], v[108:111]// 000000004C24: D3CD006C 0DB2A934
	v_mfma_f32_16x16x16_f16 v[108:111], a[54:55], v[86:87], v[108:111]// 000000004C2C: D3CD006C 0DB2AD36
	v_mfma_f32_16x16x16_f16 v[108:111], a[56:57], v[88:89], v[108:111]// 000000004C34: D3CD006C 0DB2B138
	v_mfma_f32_16x16x16_f16 v[108:111], a[58:59], v[90:91], v[108:111]// 000000004C3C: D3CD006C 0DB2B53A
	v_mfma_f32_16x16x16_f16 v[108:111], a[60:61], v[92:93], v[108:111]// 000000004C44: D3CD006C 0DB2B93C
	v_mfma_f32_16x16x16_f16 v[108:111], a[62:63], v[94:95], v[108:111]// 000000004C4C: D3CD006C 0DB2BD3E
	s_nop 8                                                    // 000000004C54: BF800008
	s_and_b32 s60, s72, 0xff                                   // 000000004C58: 863CFF48 000000FF
	v_mov_b32_e32 v53, s60                                     // 000000004C60: 7E6A023C
	v_lshrrev_b32_e32 v30, 4, v0                               // 000000004C64: 203C0084
	v_mul_i32_i24_e32 v30, 4, v30                              // 000000004C68: 0C3C3C84
	s_mul_i32 s60, s7, 16                                      // 000000004C6C: 923C9007
	v_add_u32_e32 v30, s60, v30                                // 000000004C70: 683C3C3C
	v_add_u32_e32 v31, 1, v30                                  // 000000004C74: 683E3C81
	v_add_u32_e32 v32, 2, v30                                  // 000000004C78: 68403C82
	v_add_u32_e32 v33, 3, v30                                  // 000000004C7C: 68423C83
	v_and_b32_e32 v38, v52, v9                                 // 000000004C80: 264C1334
	v_cmp_lt_u32_e64 s[40:41], v30, v53                        // 000000004C84: D0C90028 00026B1E
	v_add_u32_e32 v30, 64, v30                                 // 000000004C8C: 683C3CC0
	s_nop 0                                                    // 000000004C90: BF800000
	v_cndmask_b32_e64 v96, v38, v96, s[40:41]                  // 000000004C94: D1000060 00A2C126
	v_cmp_lt_u32_e64 s[40:41], v31, v53                        // 000000004C9C: D0C90028 00026B1F
	v_add_u32_e32 v31, 64, v31                                 // 000000004CA4: 683E3EC0
	s_nop 0                                                    // 000000004CA8: BF800000
	v_cndmask_b32_e64 v97, v38, v97, s[40:41]                  // 000000004CAC: D1000061 00A2C326
	v_cmp_lt_u32_e64 s[40:41], v32, v53                        // 000000004CB4: D0C90028 00026B20
	v_add_u32_e32 v32, 64, v32                                 // 000000004CBC: 684040C0
	s_nop 0                                                    // 000000004CC0: BF800000
	v_cndmask_b32_e64 v98, v38, v98, s[40:41]                  // 000000004CC4: D1000062 00A2C526
	v_cmp_lt_u32_e64 s[40:41], v33, v53                        // 000000004CCC: D0C90028 00026B21
	v_add_u32_e32 v33, 64, v33                                 // 000000004CD4: 684242C0
	s_nop 0                                                    // 000000004CD8: BF800000
	v_cndmask_b32_e64 v99, v38, v99, s[40:41]                  // 000000004CDC: D1000063 00A2C726
	v_cmp_lt_u32_e64 s[40:41], v30, v53                        // 000000004CE4: D0C90028 00026B1E
	v_add_u32_e32 v30, 64, v30                                 // 000000004CEC: 683C3CC0
	s_nop 0                                                    // 000000004CF0: BF800000
	v_cndmask_b32_e64 v100, v38, v100, s[40:41]                // 000000004CF4: D1000064 00A2C926
	v_cmp_lt_u32_e64 s[40:41], v31, v53                        // 000000004CFC: D0C90028 00026B1F
	v_add_u32_e32 v31, 64, v31                                 // 000000004D04: 683E3EC0
	s_nop 0                                                    // 000000004D08: BF800000
	v_cndmask_b32_e64 v101, v38, v101, s[40:41]                // 000000004D0C: D1000065 00A2CB26
	v_cmp_lt_u32_e64 s[40:41], v32, v53                        // 000000004D14: D0C90028 00026B20
	v_add_u32_e32 v32, 64, v32                                 // 000000004D1C: 684040C0
	s_nop 0                                                    // 000000004D20: BF800000
	v_cndmask_b32_e64 v102, v38, v102, s[40:41]                // 000000004D24: D1000066 00A2CD26
	v_cmp_lt_u32_e64 s[40:41], v33, v53                        // 000000004D2C: D0C90028 00026B21
	v_add_u32_e32 v33, 64, v33                                 // 000000004D34: 684242C0
	s_nop 0                                                    // 000000004D38: BF800000
	v_cndmask_b32_e64 v103, v38, v103, s[40:41]                // 000000004D3C: D1000067 00A2CF26
	v_cmp_lt_u32_e64 s[40:41], v30, v53                        // 000000004D44: D0C90028 00026B1E
	v_add_u32_e32 v30, 64, v30                                 // 000000004D4C: 683C3CC0
	s_nop 0                                                    // 000000004D50: BF800000
	v_cndmask_b32_e64 v104, v38, v104, s[40:41]                // 000000004D54: D1000068 00A2D126
	v_cmp_lt_u32_e64 s[40:41], v31, v53                        // 000000004D5C: D0C90028 00026B1F
	v_add_u32_e32 v31, 64, v31                                 // 000000004D64: 683E3EC0
	s_nop 0                                                    // 000000004D68: BF800000
	v_cndmask_b32_e64 v105, v38, v105, s[40:41]                // 000000004D6C: D1000069 00A2D326
	v_cmp_lt_u32_e64 s[40:41], v32, v53                        // 000000004D74: D0C90028 00026B20
	v_add_u32_e32 v32, 64, v32                                 // 000000004D7C: 684040C0
	s_nop 0                                                    // 000000004D80: BF800000
	v_cndmask_b32_e64 v106, v38, v106, s[40:41]                // 000000004D84: D100006A 00A2D526
	v_cmp_lt_u32_e64 s[40:41], v33, v53                        // 000000004D8C: D0C90028 00026B21
	v_add_u32_e32 v33, 64, v33                                 // 000000004D94: 684242C0
	s_nop 0                                                    // 000000004D98: BF800000
	v_cndmask_b32_e64 v107, v38, v107, s[40:41]                // 000000004D9C: D100006B 00A2D726
	v_cmp_lt_u32_e64 s[40:41], v30, v53                        // 000000004DA4: D0C90028 00026B1E
	v_add_u32_e32 v30, 64, v30                                 // 000000004DAC: 683C3CC0
	s_nop 0                                                    // 000000004DB0: BF800000
	v_cndmask_b32_e64 v108, v38, v108, s[40:41]                // 000000004DB4: D100006C 00A2D926
	v_cmp_lt_u32_e64 s[40:41], v31, v53                        // 000000004DBC: D0C90028 00026B1F
	v_add_u32_e32 v31, 64, v31                                 // 000000004DC4: 683E3EC0
	s_nop 0                                                    // 000000004DC8: BF800000
	v_cndmask_b32_e64 v109, v38, v109, s[40:41]                // 000000004DCC: D100006D 00A2DB26
	v_cmp_lt_u32_e64 s[40:41], v32, v53                        // 000000004DD4: D0C90028 00026B20
	v_add_u32_e32 v32, 64, v32                                 // 000000004DDC: 684040C0
	s_nop 0                                                    // 000000004DE0: BF800000
	v_cndmask_b32_e64 v110, v38, v110, s[40:41]                // 000000004DE4: D100006E 00A2DD26
	v_cmp_lt_u32_e64 s[40:41], v33, v53                        // 000000004DEC: D0C90028 00026B21
	v_add_u32_e32 v33, 64, v33                                 // 000000004DF4: 684242C0
	s_nop 0                                                    // 000000004DF8: BF800000
	v_cndmask_b32_e64 v111, v38, v111, s[40:41]                // 000000004DFC: D100006F 00A2DF26
	s_nop 8                                                    // 000000004E04: BF800008
	v_or_b32_dpp v96, v104, v96 row_shr:8 row_mask:0xf bank_mask:0xf bound_ctrl:1// 000000004E08: 28C0C0FA FF091868
	v_or_b32_dpp v97, v105, v97 row_shr:8 row_mask:0xf bank_mask:0xf bound_ctrl:1// 000000004E10: 28C2C2FA FF091869
	v_or_b32_dpp v98, v106, v98 row_shr:8 row_mask:0xf bank_mask:0xf bound_ctrl:1// 000000004E18: 28C4C4FA FF09186A
	v_or_b32_dpp v99, v107, v99 row_shr:8 row_mask:0xf bank_mask:0xf bound_ctrl:1// 000000004E20: 28C6C6FA FF09186B
	v_or_b32_dpp v100, v108, v100 row_shr:8 row_mask:0xf bank_mask:0xf bound_ctrl:1// 000000004E28: 28C8C8FA FF09186C
	v_or_b32_dpp v101, v109, v101 row_shr:8 row_mask:0xf bank_mask:0xf bound_ctrl:1// 000000004E30: 28CACAFA FF09186D
	v_or_b32_dpp v102, v110, v102 row_shr:8 row_mask:0xf bank_mask:0xf bound_ctrl:1// 000000004E38: 28CCCCFA FF09186E
	v_or_b32_dpp v103, v111, v103 row_shr:8 row_mask:0xf bank_mask:0xf bound_ctrl:1// 000000004E40: 28CECEFA FF09186F
	v_mov_b32_e32 v48, v96                                     // 000000004E48: 7E600360
	v_max3_f32 v48, v96, v97, v48                              // 000000004E4C: D1D30030 04C2C360
	v_max3_f32 v48, v98, v99, v48                              // 000000004E54: D1D30030 04C2C762
	v_max3_f32 v48, v100, v101, v48                            // 000000004E5C: D1D30030 04C2CB64
	v_max3_f32 v48, v102, v103, v48                            // 000000004E64: D1D30030 04C2CF66
	ds_write_b32 v11, v48 offset:4224                          // 000000004E6C: D81A1080 0000300B
	s_waitcnt lgkmcnt(0)                                       // 000000004E74: BF8CC07F
	s_barrier                                                  // 000000004E78: BF8A0000
	ds_read_b32 v64, v10 offset:4224                           // 000000004E7C: D86C1080 4000000A
	ds_read_b32 v65, v10 offset:4288                           // 000000004E84: D86C10C0 4100000A
	ds_read_b32 v66, v10 offset:4352                           // 000000004E8C: D86C1100 4200000A
	ds_read_b32 v67, v10 offset:4416                           // 000000004E94: D86C1140 4300000A
	ds_read_b32 v68, v10 offset:4480                           // 000000004E9C: D86C1180 4400000A
	ds_read_b32 v69, v10 offset:4544                           // 000000004EA4: D86C11C0 4500000A
	ds_read_b32 v70, v10 offset:4608                           // 000000004EAC: D86C1200 4600000A
	ds_read_b32 v71, v10 offset:4672                           // 000000004EB4: D86C1240 4700000A
	ds_read_b32 v72, v10 offset:4736                           // 000000004EBC: D86C1280 4800000A
	ds_read_b32 v73, v10 offset:4800                           // 000000004EC4: D86C12C0 4900000A
	ds_read_b32 v74, v10 offset:4864                           // 000000004ECC: D86C1300 4A00000A
	ds_read_b32 v75, v10 offset:4928                           // 000000004ED4: D86C1340 4B00000A
	ds_read_b32 v76, v10 offset:4992                           // 000000004EDC: D86C1380 4C00000A
	ds_read_b32 v77, v10 offset:5056                           // 000000004EE4: D86C13C0 4D00000A
	ds_read_b32 v78, v10 offset:5120                           // 000000004EEC: D86C1400 4E00000A
	ds_read_b32 v79, v10 offset:5184                           // 000000004EF4: D86C1440 4F00000A
	s_waitcnt lgkmcnt(0)                                       // 000000004EFC: BF8CC07F
	v_max3_f32 v48, v64, v65, v48                              // 000000004F00: D1D30030 04C28340
	v_max3_f32 v48, v66, v67, v48                              // 000000004F08: D1D30030 04C28742
	v_max3_f32 v48, v68, v69, v48                              // 000000004F10: D1D30030 04C28B44
	v_max3_f32 v48, v70, v71, v48                              // 000000004F18: D1D30030 04C28F46
	v_max3_f32 v48, v72, v73, v48                              // 000000004F20: D1D30030 04C29348
	v_max3_f32 v48, v74, v75, v48                              // 000000004F28: D1D30030 04C2974A
	v_max3_f32 v48, v76, v77, v48                              // 000000004F30: D1D30030 04C29B4C
	v_max3_f32 v48, v78, v79, v48                              // 000000004F38: D1D30030 04C29F4E
	v_cmp_eq_u32_e64 s[40:41], v52, v14                        // 000000004F40: D0CA0028 00021D34
	s_nop 1                                                    // 000000004F48: BF800001
	v_mov_b32_dpp v38, v48 row_ror:8 row_mask:0xf bank_mask:0xf// 000000004F4C: 7E4C02FA FF012830
	v_max_f32_e32 v48, v48, v38                                // 000000004F54: 16604D30
	v_max_f32_e32 v15, v48, v14                                // 000000004F58: 161E1D30
	v_sub_f32_e32 v49, v14, v15                                // 000000004F5C: 04621F0E
	v_cndmask_b32_e64 v49, v49, 0, s[40:41]                    // 000000004F60: D1000031 00A10131
	v_mov_b32_e32 v14, v15                                     // 000000004F68: 7E1C030F
	v_mul_f32_e32 v50, s64, v15                                // 000000004F6C: 0A641E40
	v_mul_f32_e32 v49, s64, v49                                // 000000004F70: 0A626240
	v_exp_f32_e32 v49, v49                                     // 000000004F74: 7E624131
	v_fma_f32 v96, v96, s64, -v50                              // 000000004F78: D1CB0060 84C88160
	v_fma_f32 v97, v97, s64, -v50                              // 000000004F80: D1CB0061 84C88161
	v_fma_f32 v98, v98, s64, -v50                              // 000000004F88: D1CB0062 84C88162
	v_fma_f32 v99, v99, s64, -v50                              // 000000004F90: D1CB0063 84C88163
	v_fma_f32 v100, v100, s64, -v50                            // 000000004F98: D1CB0064 84C88164
	v_fma_f32 v101, v101, s64, -v50                            // 000000004FA0: D1CB0065 84C88165
	v_fma_f32 v102, v102, s64, -v50                            // 000000004FA8: D1CB0066 84C88166
	v_fma_f32 v103, v103, s64, -v50                            // 000000004FB0: D1CB0067 84C88167
	v_exp_f32_e32 v96, v96                                     // 000000004FB8: 7EC04160
	v_exp_f32_e32 v97, v97                                     // 000000004FBC: 7EC24161
	v_exp_f32_e32 v98, v98                                     // 000000004FC0: 7EC44162
	v_exp_f32_e32 v99, v99                                     // 000000004FC4: 7EC64163
	v_exp_f32_e32 v100, v100                                   // 000000004FC8: 7EC84164
	v_exp_f32_e32 v101, v101                                   // 000000004FCC: 7ECA4165
	v_exp_f32_e32 v102, v102                                   // 000000004FD0: 7ECC4166
	v_exp_f32_e32 v103, v103                                   // 000000004FD4: 7ECE4167
	v_mul_f32_e32 v42, v49, v42                                // 000000004FD8: 0A545531
	v_mov_b32_e32 v43, v96                                     // 000000004FDC: 7E560360
	v_add_f32_e32 v43, v97, v43                                // 000000004FE0: 02565761
	v_add_f32_e32 v43, v98, v43                                // 000000004FE4: 02565762
	v_add_f32_e32 v43, v99, v43                                // 000000004FE8: 02565763
	v_add_f32_e32 v43, v100, v43                               // 000000004FEC: 02565764
	v_add_f32_e32 v43, v101, v43                               // 000000004FF0: 02565765
	v_add_f32_e32 v43, v102, v43                               // 000000004FF4: 02565766
	v_add_f32_e32 v43, v103, v43                               // 000000004FF8: 02565767
	v_add_f32_e32 v42, v43, v42                                // 000000004FFC: 0254552B
	v_cvt_pkrtz_f16_f32 v38, v96, v97                          // 000000005000: D2960026 0002C360
	v_mov_b32_e32 v96, v38                                     // 000000005008: 7EC00326
	v_cvt_pkrtz_f16_f32 v38, v98, v99                          // 00000000500C: D2960026 0002C762
	v_mov_b32_e32 v97, v38                                     // 000000005014: 7EC20326
	v_cvt_pkrtz_f16_f32 v38, v100, v101                        // 000000005018: D2960026 0002CB64
	v_mov_b32_e32 v98, v38                                     // 000000005020: 7EC40326
	v_cvt_pkrtz_f16_f32 v38, v102, v103                        // 000000005024: D2960026 0002CF66
	v_mov_b32_e32 v99, v38                                     // 00000000502C: 7EC60326
	ds_write_b64 v13, v[96:97] offset:5248                     // 000000005030: D89A1480 0000600D
	ds_write_b64 v13, v[98:99] offset:7296                     // 000000005038: D89A1C80 0000620D
	s_waitcnt lgkmcnt(0)                                       // 000000005040: BF8CC07F
	s_barrier                                                  // 000000005044: BF8A0000
	ds_read_b64 v[96:97], v12 offset:5248                      // 000000005048: D8EC1480 6000000C
	ds_read_b64 v[98:99], v12 offset:5376                      // 000000005050: D8EC1500 6200000C
	ds_read_b64 v[100:101], v12 offset:6272                    // 000000005058: D8EC1880 6400000C
	ds_read_b64 v[102:103], v12 offset:6400                    // 000000005060: D8EC1900 6600000C
	ds_read_b64 v[104:105], v12 offset:7296                    // 000000005068: D8EC1C80 6800000C
	ds_read_b64 v[106:107], v12 offset:7424                    // 000000005070: D8EC1D00 6A00000C
	ds_read_b64 v[108:109], v12 offset:8320                    // 000000005078: D8EC2080 6C00000C
	ds_read_b64 v[110:111], v12 offset:8448                    // 000000005080: D8EC2100 6E00000C
	s_waitcnt lgkmcnt(0)                                       // 000000005088: BF8CC07F
	v_mov_b32_dpp v112, v96 row_shl:8 row_mask:0xf bank_mask:0xf bound_ctrl:1// 00000000508C: 7EE002FA FF090860
	v_and_b32_e32 v96, v96, v9                                 // 000000005094: 26C01360
	v_mov_b32_dpp v113, v97 row_shl:8 row_mask:0xf bank_mask:0xf bound_ctrl:1// 000000005098: 7EE202FA FF090861
	v_and_b32_e32 v97, v97, v9                                 // 0000000050A0: 26C21361
	v_mov_b32_dpp v114, v98 row_shl:8 row_mask:0xf bank_mask:0xf bound_ctrl:1// 0000000050A4: 7EE402FA FF090862
	v_and_b32_e32 v98, v98, v9                                 // 0000000050AC: 26C41362
	v_mov_b32_dpp v115, v99 row_shl:8 row_mask:0xf bank_mask:0xf bound_ctrl:1// 0000000050B0: 7EE602FA FF090863
	v_and_b32_e32 v99, v99, v9                                 // 0000000050B8: 26C61363
	v_mov_b32_dpp v116, v100 row_shl:8 row_mask:0xf bank_mask:0xf bound_ctrl:1// 0000000050BC: 7EE802FA FF090864
	v_and_b32_e32 v100, v100, v9                               // 0000000050C4: 26C81364
	v_mov_b32_dpp v117, v101 row_shl:8 row_mask:0xf bank_mask:0xf bound_ctrl:1// 0000000050C8: 7EEA02FA FF090865
	v_and_b32_e32 v101, v101, v9                               // 0000000050D0: 26CA1365
	v_mov_b32_dpp v118, v102 row_shl:8 row_mask:0xf bank_mask:0xf bound_ctrl:1// 0000000050D4: 7EEC02FA FF090866
	v_and_b32_e32 v102, v102, v9                               // 0000000050DC: 26CC1366
	v_mov_b32_dpp v119, v103 row_shl:8 row_mask:0xf bank_mask:0xf bound_ctrl:1// 0000000050E0: 7EEE02FA FF090867
	v_and_b32_e32 v103, v103, v9                               // 0000000050E8: 26CE1367
	v_mov_b32_dpp v120, v104 row_shl:8 row_mask:0xf bank_mask:0xf bound_ctrl:1// 0000000050EC: 7EF002FA FF090868
	v_and_b32_e32 v104, v104, v9                               // 0000000050F4: 26D01368
	v_mov_b32_dpp v121, v105 row_shl:8 row_mask:0xf bank_mask:0xf bound_ctrl:1// 0000000050F8: 7EF202FA FF090869
	v_and_b32_e32 v105, v105, v9                               // 000000005100: 26D21369
	v_mov_b32_dpp v122, v106 row_shl:8 row_mask:0xf bank_mask:0xf bound_ctrl:1// 000000005104: 7EF402FA FF09086A
	v_and_b32_e32 v106, v106, v9                               // 00000000510C: 26D4136A
	v_mov_b32_dpp v123, v107 row_shl:8 row_mask:0xf bank_mask:0xf bound_ctrl:1// 000000005110: 7EF602FA FF09086B
	v_and_b32_e32 v107, v107, v9                               // 000000005118: 26D6136B
	v_mov_b32_dpp v124, v108 row_shl:8 row_mask:0xf bank_mask:0xf bound_ctrl:1// 00000000511C: 7EF802FA FF09086C
	v_and_b32_e32 v108, v108, v9                               // 000000005124: 26D8136C
	v_mov_b32_dpp v125, v109 row_shl:8 row_mask:0xf bank_mask:0xf bound_ctrl:1// 000000005128: 7EFA02FA FF09086D
	v_and_b32_e32 v109, v109, v9                               // 000000005130: 26DA136D
	v_mov_b32_dpp v126, v110 row_shl:8 row_mask:0xf bank_mask:0xf bound_ctrl:1// 000000005134: 7EFC02FA FF09086E
	v_and_b32_e32 v110, v110, v9                               // 00000000513C: 26DC136E
	v_mov_b32_dpp v127, v111 row_shl:8 row_mask:0xf bank_mask:0xf bound_ctrl:1// 000000005140: 7EFE02FA FF09086F
	v_and_b32_e32 v111, v111, v9                               // 000000005148: 26DE136F
	v_mul_f32_e32 v128, v49, v128                              // 00000000514C: 0B010131
	v_mul_f32_e32 v129, v49, v129                              // 000000005150: 0B030331
	v_mul_f32_e32 v130, v49, v130                              // 000000005154: 0B050531
	v_mul_f32_e32 v131, v49, v131                              // 000000005158: 0B070731
	v_mul_f32_e32 v132, v49, v132                              // 00000000515C: 0B090931
	v_mul_f32_e32 v133, v49, v133                              // 000000005160: 0B0B0B31
	v_mul_f32_e32 v134, v49, v134                              // 000000005164: 0B0D0D31
	v_mul_f32_e32 v135, v49, v135                              // 000000005168: 0B0F0F31
	s_waitcnt vmcnt(0)                                         // 00000000516C: BF8C0F70
	s_barrier                                                  // 000000005170: BF8A0000
	v_mfma_f32_16x16x16_f16 v[128:131], a[128:129], v[96:97], v[128:131]// 000000005174: D3CD0080 0E02C180
	v_mfma_f32_16x16x16_f16 v[128:131], a[130:131], v[98:99], v[128:131]// 00000000517C: D3CD0080 0E02C582
	v_mfma_f32_16x16x16_f16 v[128:131], a[132:133], v[100:101], v[128:131]// 000000005184: D3CD0080 0E02C984
	v_mfma_f32_16x16x16_f16 v[128:131], a[134:135], v[102:103], v[128:131]// 00000000518C: D3CD0080 0E02CD86
	v_mfma_f32_16x16x16_f16 v[128:131], a[136:137], v[104:105], v[128:131]// 000000005194: D3CD0080 0E02D188
	v_mfma_f32_16x16x16_f16 v[128:131], a[138:139], v[106:107], v[128:131]// 00000000519C: D3CD0080 0E02D58A
	v_mfma_f32_16x16x16_f16 v[128:131], a[140:141], v[108:109], v[128:131]// 0000000051A4: D3CD0080 0E02D98C
	v_mfma_f32_16x16x16_f16 v[128:131], a[142:143], v[110:111], v[128:131]// 0000000051AC: D3CD0080 0E02DD8E
	v_mfma_f32_16x16x16_f16 v[128:131], a[144:145], v[112:113], v[128:131]// 0000000051B4: D3CD0080 0E02E190
	v_mfma_f32_16x16x16_f16 v[128:131], a[146:147], v[114:115], v[128:131]// 0000000051BC: D3CD0080 0E02E592
	v_mfma_f32_16x16x16_f16 v[128:131], a[148:149], v[116:117], v[128:131]// 0000000051C4: D3CD0080 0E02E994
	v_mfma_f32_16x16x16_f16 v[128:131], a[150:151], v[118:119], v[128:131]// 0000000051CC: D3CD0080 0E02ED96
	v_mfma_f32_16x16x16_f16 v[128:131], a[152:153], v[120:121], v[128:131]// 0000000051D4: D3CD0080 0E02F198
	v_mfma_f32_16x16x16_f16 v[128:131], a[154:155], v[122:123], v[128:131]// 0000000051DC: D3CD0080 0E02F59A
	v_mfma_f32_16x16x16_f16 v[128:131], a[156:157], v[124:125], v[128:131]// 0000000051E4: D3CD0080 0E02F99C
	v_mfma_f32_16x16x16_f16 v[128:131], a[158:159], v[126:127], v[128:131]// 0000000051EC: D3CD0080 0E02FD9E
	v_mfma_f32_16x16x16_f16 v[132:135], a[160:161], v[96:97], v[132:135]// 0000000051F4: D3CD0084 0E12C1A0
	v_mfma_f32_16x16x16_f16 v[132:135], a[162:163], v[98:99], v[132:135]// 0000000051FC: D3CD0084 0E12C5A2
	v_mfma_f32_16x16x16_f16 v[132:135], a[164:165], v[100:101], v[132:135]// 000000005204: D3CD0084 0E12C9A4
	v_mfma_f32_16x16x16_f16 v[132:135], a[166:167], v[102:103], v[132:135]// 00000000520C: D3CD0084 0E12CDA6
	v_mfma_f32_16x16x16_f16 v[132:135], a[168:169], v[104:105], v[132:135]// 000000005214: D3CD0084 0E12D1A8
	v_mfma_f32_16x16x16_f16 v[132:135], a[170:171], v[106:107], v[132:135]// 00000000521C: D3CD0084 0E12D5AA
	v_mfma_f32_16x16x16_f16 v[132:135], a[172:173], v[108:109], v[132:135]// 000000005224: D3CD0084 0E12D9AC
	v_mfma_f32_16x16x16_f16 v[132:135], a[174:175], v[110:111], v[132:135]// 00000000522C: D3CD0084 0E12DDAE
	v_mfma_f32_16x16x16_f16 v[132:135], a[176:177], v[112:113], v[132:135]// 000000005234: D3CD0084 0E12E1B0
	v_mfma_f32_16x16x16_f16 v[132:135], a[178:179], v[114:115], v[132:135]// 00000000523C: D3CD0084 0E12E5B2
	v_mfma_f32_16x16x16_f16 v[132:135], a[180:181], v[116:117], v[132:135]// 000000005244: D3CD0084 0E12E9B4
	v_mfma_f32_16x16x16_f16 v[132:135], a[182:183], v[118:119], v[132:135]// 00000000524C: D3CD0084 0E12EDB6
	v_mfma_f32_16x16x16_f16 v[132:135], a[184:185], v[120:121], v[132:135]// 000000005254: D3CD0084 0E12F1B8
	v_mfma_f32_16x16x16_f16 v[132:135], a[186:187], v[122:123], v[132:135]// 00000000525C: D3CD0084 0E12F5BA
	v_mfma_f32_16x16x16_f16 v[132:135], a[188:189], v[124:125], v[132:135]// 000000005264: D3CD0084 0E12F9BC
	v_mfma_f32_16x16x16_f16 v[132:135], a[190:191], v[126:127], v[132:135]// 00000000526C: D3CD0084 0E12FDBE
	s_nop 8                                                    // 000000005274: BF800008
	s_branch label_0DEC                                        // 000000005278: BF8201CC

000000000000527c <label_0C20>:
	s_waitcnt vmcnt(16) lgkmcnt(0)                             // 00000000527C: BF8C4070
	s_barrier                                                  // 000000005280: BF8A0000
	v_mfma_f32_16x16x16_f16 v[96:99], a[64:65], v[80:81], 0    // 000000005284: D3CD0060 0A02A140
	v_mfma_f32_16x16x16_f16 v[96:99], a[66:67], v[82:83], v[96:99]// 00000000528C: D3CD0060 0D82A542
	v_mfma_f32_16x16x16_f16 v[96:99], a[68:69], v[84:85], v[96:99]// 000000005294: D3CD0060 0D82A944
	v_mfma_f32_16x16x16_f16 v[96:99], a[70:71], v[86:87], v[96:99]// 00000000529C: D3CD0060 0D82AD46
	v_mfma_f32_16x16x16_f16 v[96:99], a[72:73], v[88:89], v[96:99]// 0000000052A4: D3CD0060 0D82B148
	v_mfma_f32_16x16x16_f16 v[96:99], a[74:75], v[90:91], v[96:99]// 0000000052AC: D3CD0060 0D82B54A
	v_mfma_f32_16x16x16_f16 v[96:99], a[76:77], v[92:93], v[96:99]// 0000000052B4: D3CD0060 0D82B94C
	v_mfma_f32_16x16x16_f16 v[96:99], a[78:79], v[94:95], v[96:99]// 0000000052BC: D3CD0060 0D82BD4E
	v_mfma_f32_16x16x16_f16 v[100:103], a[80:81], v[80:81], 0  // 0000000052C4: D3CD0064 0A02A150
	v_mfma_f32_16x16x16_f16 v[100:103], a[82:83], v[82:83], v[100:103]// 0000000052CC: D3CD0064 0D92A552
	v_mfma_f32_16x16x16_f16 v[100:103], a[84:85], v[84:85], v[100:103]// 0000000052D4: D3CD0064 0D92A954
	v_mfma_f32_16x16x16_f16 v[100:103], a[86:87], v[86:87], v[100:103]// 0000000052DC: D3CD0064 0D92AD56
	v_mfma_f32_16x16x16_f16 v[100:103], a[88:89], v[88:89], v[100:103]// 0000000052E4: D3CD0064 0D92B158
	v_mfma_f32_16x16x16_f16 v[100:103], a[90:91], v[90:91], v[100:103]// 0000000052EC: D3CD0064 0D92B55A
	v_mfma_f32_16x16x16_f16 v[100:103], a[92:93], v[92:93], v[100:103]// 0000000052F4: D3CD0064 0D92B95C
	v_mfma_f32_16x16x16_f16 v[100:103], a[94:95], v[94:95], v[100:103]// 0000000052FC: D3CD0064 0D92BD5E
	v_mfma_f32_16x16x16_f16 v[104:107], a[96:97], v[80:81], 0  // 000000005304: D3CD0068 0A02A160
	v_mfma_f32_16x16x16_f16 v[104:107], a[98:99], v[82:83], v[104:107]// 00000000530C: D3CD0068 0DA2A562
	v_mfma_f32_16x16x16_f16 v[104:107], a[100:101], v[84:85], v[104:107]// 000000005314: D3CD0068 0DA2A964
	v_mfma_f32_16x16x16_f16 v[104:107], a[102:103], v[86:87], v[104:107]// 00000000531C: D3CD0068 0DA2AD66
	v_mfma_f32_16x16x16_f16 v[104:107], a[104:105], v[88:89], v[104:107]// 000000005324: D3CD0068 0DA2B168
	v_mfma_f32_16x16x16_f16 v[104:107], a[106:107], v[90:91], v[104:107]// 00000000532C: D3CD0068 0DA2B56A
	v_mfma_f32_16x16x16_f16 v[104:107], a[108:109], v[92:93], v[104:107]// 000000005334: D3CD0068 0DA2B96C
	v_mfma_f32_16x16x16_f16 v[104:107], a[110:111], v[94:95], v[104:107]// 00000000533C: D3CD0068 0DA2BD6E
	v_mfma_f32_16x16x16_f16 v[108:111], a[112:113], v[80:81], 0// 000000005344: D3CD006C 0A02A170
	v_mfma_f32_16x16x16_f16 v[108:111], a[114:115], v[82:83], v[108:111]// 00000000534C: D3CD006C 0DB2A572
	v_mfma_f32_16x16x16_f16 v[108:111], a[116:117], v[84:85], v[108:111]// 000000005354: D3CD006C 0DB2A974
	v_mfma_f32_16x16x16_f16 v[108:111], a[118:119], v[86:87], v[108:111]// 00000000535C: D3CD006C 0DB2AD76
	v_mfma_f32_16x16x16_f16 v[108:111], a[120:121], v[88:89], v[108:111]// 000000005364: D3CD006C 0DB2B178
	v_mfma_f32_16x16x16_f16 v[108:111], a[122:123], v[90:91], v[108:111]// 00000000536C: D3CD006C 0DB2B57A
	v_mfma_f32_16x16x16_f16 v[108:111], a[124:125], v[92:93], v[108:111]// 000000005374: D3CD006C 0DB2B97C
	v_mfma_f32_16x16x16_f16 v[108:111], a[126:127], v[94:95], v[108:111]// 00000000537C: D3CD006C 0DB2BD7E
	s_nop 8                                                    // 000000005384: BF800008
	s_and_b32 s60, s72, 0xff                                   // 000000005388: 863CFF48 000000FF
	v_mov_b32_e32 v53, s60                                     // 000000005390: 7E6A023C
	v_lshrrev_b32_e32 v30, 4, v0                               // 000000005394: 203C0084
	v_mul_i32_i24_e32 v30, 4, v30                              // 000000005398: 0C3C3C84
	s_mul_i32 s60, s7, 16                                      // 00000000539C: 923C9007
	v_add_u32_e32 v30, s60, v30                                // 0000000053A0: 683C3C3C
	v_add_u32_e32 v31, 1, v30                                  // 0000000053A4: 683E3C81
	v_add_u32_e32 v32, 2, v30                                  // 0000000053A8: 68403C82
	v_add_u32_e32 v33, 3, v30                                  // 0000000053AC: 68423C83
	v_and_b32_e32 v38, v52, v9                                 // 0000000053B0: 264C1334
	v_cmp_lt_u32_e64 s[40:41], v30, v53                        // 0000000053B4: D0C90028 00026B1E
	v_add_u32_e32 v30, 64, v30                                 // 0000000053BC: 683C3CC0
	s_nop 0                                                    // 0000000053C0: BF800000
	v_cndmask_b32_e64 v96, v38, v96, s[40:41]                  // 0000000053C4: D1000060 00A2C126
	v_cmp_lt_u32_e64 s[40:41], v31, v53                        // 0000000053CC: D0C90028 00026B1F
	v_add_u32_e32 v31, 64, v31                                 // 0000000053D4: 683E3EC0
	s_nop 0                                                    // 0000000053D8: BF800000
	v_cndmask_b32_e64 v97, v38, v97, s[40:41]                  // 0000000053DC: D1000061 00A2C326
	v_cmp_lt_u32_e64 s[40:41], v32, v53                        // 0000000053E4: D0C90028 00026B20
	v_add_u32_e32 v32, 64, v32                                 // 0000000053EC: 684040C0
	s_nop 0                                                    // 0000000053F0: BF800000
	v_cndmask_b32_e64 v98, v38, v98, s[40:41]                  // 0000000053F4: D1000062 00A2C526
	v_cmp_lt_u32_e64 s[40:41], v33, v53                        // 0000000053FC: D0C90028 00026B21
	v_add_u32_e32 v33, 64, v33                                 // 000000005404: 684242C0
	s_nop 0                                                    // 000000005408: BF800000
	v_cndmask_b32_e64 v99, v38, v99, s[40:41]                  // 00000000540C: D1000063 00A2C726
	v_cmp_lt_u32_e64 s[40:41], v30, v53                        // 000000005414: D0C90028 00026B1E
	v_add_u32_e32 v30, 64, v30                                 // 00000000541C: 683C3CC0
	s_nop 0                                                    // 000000005420: BF800000
	v_cndmask_b32_e64 v100, v38, v100, s[40:41]                // 000000005424: D1000064 00A2C926
	v_cmp_lt_u32_e64 s[40:41], v31, v53                        // 00000000542C: D0C90028 00026B1F
	v_add_u32_e32 v31, 64, v31                                 // 000000005434: 683E3EC0
	s_nop 0                                                    // 000000005438: BF800000
	v_cndmask_b32_e64 v101, v38, v101, s[40:41]                // 00000000543C: D1000065 00A2CB26
	v_cmp_lt_u32_e64 s[40:41], v32, v53                        // 000000005444: D0C90028 00026B20
	v_add_u32_e32 v32, 64, v32                                 // 00000000544C: 684040C0
	s_nop 0                                                    // 000000005450: BF800000
	v_cndmask_b32_e64 v102, v38, v102, s[40:41]                // 000000005454: D1000066 00A2CD26
	v_cmp_lt_u32_e64 s[40:41], v33, v53                        // 00000000545C: D0C90028 00026B21
	v_add_u32_e32 v33, 64, v33                                 // 000000005464: 684242C0
	s_nop 0                                                    // 000000005468: BF800000
	v_cndmask_b32_e64 v103, v38, v103, s[40:41]                // 00000000546C: D1000067 00A2CF26
	v_cmp_lt_u32_e64 s[40:41], v30, v53                        // 000000005474: D0C90028 00026B1E
	v_add_u32_e32 v30, 64, v30                                 // 00000000547C: 683C3CC0
	s_nop 0                                                    // 000000005480: BF800000
	v_cndmask_b32_e64 v104, v38, v104, s[40:41]                // 000000005484: D1000068 00A2D126
	v_cmp_lt_u32_e64 s[40:41], v31, v53                        // 00000000548C: D0C90028 00026B1F
	v_add_u32_e32 v31, 64, v31                                 // 000000005494: 683E3EC0
	s_nop 0                                                    // 000000005498: BF800000
	v_cndmask_b32_e64 v105, v38, v105, s[40:41]                // 00000000549C: D1000069 00A2D326
	v_cmp_lt_u32_e64 s[40:41], v32, v53                        // 0000000054A4: D0C90028 00026B20
	v_add_u32_e32 v32, 64, v32                                 // 0000000054AC: 684040C0
	s_nop 0                                                    // 0000000054B0: BF800000
	v_cndmask_b32_e64 v106, v38, v106, s[40:41]                // 0000000054B4: D100006A 00A2D526
	v_cmp_lt_u32_e64 s[40:41], v33, v53                        // 0000000054BC: D0C90028 00026B21
	v_add_u32_e32 v33, 64, v33                                 // 0000000054C4: 684242C0
	s_nop 0                                                    // 0000000054C8: BF800000
	v_cndmask_b32_e64 v107, v38, v107, s[40:41]                // 0000000054CC: D100006B 00A2D726
	v_cmp_lt_u32_e64 s[40:41], v30, v53                        // 0000000054D4: D0C90028 00026B1E
	v_add_u32_e32 v30, 64, v30                                 // 0000000054DC: 683C3CC0
	s_nop 0                                                    // 0000000054E0: BF800000
	v_cndmask_b32_e64 v108, v38, v108, s[40:41]                // 0000000054E4: D100006C 00A2D926
	v_cmp_lt_u32_e64 s[40:41], v31, v53                        // 0000000054EC: D0C90028 00026B1F
	v_add_u32_e32 v31, 64, v31                                 // 0000000054F4: 683E3EC0
	s_nop 0                                                    // 0000000054F8: BF800000
	v_cndmask_b32_e64 v109, v38, v109, s[40:41]                // 0000000054FC: D100006D 00A2DB26
	v_cmp_lt_u32_e64 s[40:41], v32, v53                        // 000000005504: D0C90028 00026B20
	v_add_u32_e32 v32, 64, v32                                 // 00000000550C: 684040C0
	s_nop 0                                                    // 000000005510: BF800000
	v_cndmask_b32_e64 v110, v38, v110, s[40:41]                // 000000005514: D100006E 00A2DD26
	v_cmp_lt_u32_e64 s[40:41], v33, v53                        // 00000000551C: D0C90028 00026B21
	v_add_u32_e32 v33, 64, v33                                 // 000000005524: 684242C0
	s_nop 0                                                    // 000000005528: BF800000
	v_cndmask_b32_e64 v111, v38, v111, s[40:41]                // 00000000552C: D100006F 00A2DF26
	s_nop 8                                                    // 000000005534: BF800008
	v_or_b32_dpp v96, v104, v96 row_shr:8 row_mask:0xf bank_mask:0xf bound_ctrl:1// 000000005538: 28C0C0FA FF091868
	v_or_b32_dpp v97, v105, v97 row_shr:8 row_mask:0xf bank_mask:0xf bound_ctrl:1// 000000005540: 28C2C2FA FF091869
	v_or_b32_dpp v98, v106, v98 row_shr:8 row_mask:0xf bank_mask:0xf bound_ctrl:1// 000000005548: 28C4C4FA FF09186A
	v_or_b32_dpp v99, v107, v99 row_shr:8 row_mask:0xf bank_mask:0xf bound_ctrl:1// 000000005550: 28C6C6FA FF09186B
	v_or_b32_dpp v100, v108, v100 row_shr:8 row_mask:0xf bank_mask:0xf bound_ctrl:1// 000000005558: 28C8C8FA FF09186C
	v_or_b32_dpp v101, v109, v101 row_shr:8 row_mask:0xf bank_mask:0xf bound_ctrl:1// 000000005560: 28CACAFA FF09186D
	v_or_b32_dpp v102, v110, v102 row_shr:8 row_mask:0xf bank_mask:0xf bound_ctrl:1// 000000005568: 28CCCCFA FF09186E
	v_or_b32_dpp v103, v111, v103 row_shr:8 row_mask:0xf bank_mask:0xf bound_ctrl:1// 000000005570: 28CECEFA FF09186F
	v_mov_b32_e32 v48, v96                                     // 000000005578: 7E600360
	v_max3_f32 v48, v96, v97, v48                              // 00000000557C: D1D30030 04C2C360
	v_max3_f32 v48, v98, v99, v48                              // 000000005584: D1D30030 04C2C762
	v_max3_f32 v48, v100, v101, v48                            // 00000000558C: D1D30030 04C2CB64
	v_max3_f32 v48, v102, v103, v48                            // 000000005594: D1D30030 04C2CF66
	ds_write_b32 v11, v48 offset:4224                          // 00000000559C: D81A1080 0000300B
	s_waitcnt lgkmcnt(0)                                       // 0000000055A4: BF8CC07F
	s_barrier                                                  // 0000000055A8: BF8A0000
	ds_read_b32 v64, v10 offset:4224                           // 0000000055AC: D86C1080 4000000A
	ds_read_b32 v65, v10 offset:4288                           // 0000000055B4: D86C10C0 4100000A
	ds_read_b32 v66, v10 offset:4352                           // 0000000055BC: D86C1100 4200000A
	ds_read_b32 v67, v10 offset:4416                           // 0000000055C4: D86C1140 4300000A
	ds_read_b32 v68, v10 offset:4480                           // 0000000055CC: D86C1180 4400000A
	ds_read_b32 v69, v10 offset:4544                           // 0000000055D4: D86C11C0 4500000A
	ds_read_b32 v70, v10 offset:4608                           // 0000000055DC: D86C1200 4600000A
	ds_read_b32 v71, v10 offset:4672                           // 0000000055E4: D86C1240 4700000A
	ds_read_b32 v72, v10 offset:4736                           // 0000000055EC: D86C1280 4800000A
	ds_read_b32 v73, v10 offset:4800                           // 0000000055F4: D86C12C0 4900000A
	ds_read_b32 v74, v10 offset:4864                           // 0000000055FC: D86C1300 4A00000A
	ds_read_b32 v75, v10 offset:4928                           // 000000005604: D86C1340 4B00000A
	ds_read_b32 v76, v10 offset:4992                           // 00000000560C: D86C1380 4C00000A
	ds_read_b32 v77, v10 offset:5056                           // 000000005614: D86C13C0 4D00000A
	ds_read_b32 v78, v10 offset:5120                           // 00000000561C: D86C1400 4E00000A
	ds_read_b32 v79, v10 offset:5184                           // 000000005624: D86C1440 4F00000A
	s_waitcnt lgkmcnt(0)                                       // 00000000562C: BF8CC07F
	v_max3_f32 v48, v64, v65, v48                              // 000000005630: D1D30030 04C28340
	v_max3_f32 v48, v66, v67, v48                              // 000000005638: D1D30030 04C28742
	v_max3_f32 v48, v68, v69, v48                              // 000000005640: D1D30030 04C28B44
	v_max3_f32 v48, v70, v71, v48                              // 000000005648: D1D30030 04C28F46
	v_max3_f32 v48, v72, v73, v48                              // 000000005650: D1D30030 04C29348
	v_max3_f32 v48, v74, v75, v48                              // 000000005658: D1D30030 04C2974A
	v_max3_f32 v48, v76, v77, v48                              // 000000005660: D1D30030 04C29B4C
	v_max3_f32 v48, v78, v79, v48                              // 000000005668: D1D30030 04C29F4E
	v_cmp_eq_u32_e64 s[40:41], v52, v14                        // 000000005670: D0CA0028 00021D34
	s_nop 1                                                    // 000000005678: BF800001
	v_mov_b32_dpp v38, v48 row_ror:8 row_mask:0xf bank_mask:0xf// 00000000567C: 7E4C02FA FF012830
	v_max_f32_e32 v48, v48, v38                                // 000000005684: 16604D30
	v_max_f32_e32 v15, v48, v14                                // 000000005688: 161E1D30
	v_sub_f32_e32 v49, v14, v15                                // 00000000568C: 04621F0E
	v_cndmask_b32_e64 v49, v49, 0, s[40:41]                    // 000000005690: D1000031 00A10131
	v_mov_b32_e32 v14, v15                                     // 000000005698: 7E1C030F
	v_mul_f32_e32 v50, s64, v15                                // 00000000569C: 0A641E40
	v_mul_f32_e32 v49, s64, v49                                // 0000000056A0: 0A626240
	v_exp_f32_e32 v49, v49                                     // 0000000056A4: 7E624131
	v_fma_f32 v96, v96, s64, -v50                              // 0000000056A8: D1CB0060 84C88160
	v_fma_f32 v97, v97, s64, -v50                              // 0000000056B0: D1CB0061 84C88161
	v_fma_f32 v98, v98, s64, -v50                              // 0000000056B8: D1CB0062 84C88162
	v_fma_f32 v99, v99, s64, -v50                              // 0000000056C0: D1CB0063 84C88163
	v_fma_f32 v100, v100, s64, -v50                            // 0000000056C8: D1CB0064 84C88164
	v_fma_f32 v101, v101, s64, -v50                            // 0000000056D0: D1CB0065 84C88165
	v_fma_f32 v102, v102, s64, -v50                            // 0000000056D8: D1CB0066 84C88166
	v_fma_f32 v103, v103, s64, -v50                            // 0000000056E0: D1CB0067 84C88167
	v_exp_f32_e32 v96, v96                                     // 0000000056E8: 7EC04160
	v_exp_f32_e32 v97, v97                                     // 0000000056EC: 7EC24161
	v_exp_f32_e32 v98, v98                                     // 0000000056F0: 7EC44162
	v_exp_f32_e32 v99, v99                                     // 0000000056F4: 7EC64163
	v_exp_f32_e32 v100, v100                                   // 0000000056F8: 7EC84164
	v_exp_f32_e32 v101, v101                                   // 0000000056FC: 7ECA4165
	v_exp_f32_e32 v102, v102                                   // 000000005700: 7ECC4166
	v_exp_f32_e32 v103, v103                                   // 000000005704: 7ECE4167
	v_mul_f32_e32 v42, v49, v42                                // 000000005708: 0A545531
	v_mov_b32_e32 v43, v96                                     // 00000000570C: 7E560360
	v_add_f32_e32 v43, v97, v43                                // 000000005710: 02565761
	v_add_f32_e32 v43, v98, v43                                // 000000005714: 02565762
	;; [unrolled: 1-line block ×3, first 2 shown]
	v_add_f32_e32 v43, v100, v43                               // 00000000571C: 02565764
	v_add_f32_e32 v43, v101, v43                               // 000000005720: 02565765
	v_add_f32_e32 v43, v102, v43                               // 000000005724: 02565766
	;; [unrolled: 1-line block ×3, first 2 shown]
	v_add_f32_e32 v42, v43, v42                                // 00000000572C: 0254552B
	v_cvt_pkrtz_f16_f32 v38, v96, v97                          // 000000005730: D2960026 0002C360
	v_mov_b32_e32 v96, v38                                     // 000000005738: 7EC00326
	v_cvt_pkrtz_f16_f32 v38, v98, v99                          // 00000000573C: D2960026 0002C762
	v_mov_b32_e32 v97, v38                                     // 000000005744: 7EC20326
	v_cvt_pkrtz_f16_f32 v38, v100, v101                        // 000000005748: D2960026 0002CB64
	v_mov_b32_e32 v98, v38                                     // 000000005750: 7EC40326
	v_cvt_pkrtz_f16_f32 v38, v102, v103                        // 000000005754: D2960026 0002CF66
	v_mov_b32_e32 v99, v38                                     // 00000000575C: 7EC60326
	ds_write_b64 v13, v[96:97] offset:5248                     // 000000005760: D89A1480 0000600D
	ds_write_b64 v13, v[98:99] offset:7296                     // 000000005768: D89A1C80 0000620D
	s_waitcnt lgkmcnt(0)                                       // 000000005770: BF8CC07F
	s_barrier                                                  // 000000005774: BF8A0000
	ds_read_b64 v[96:97], v12 offset:5248                      // 000000005778: D8EC1480 6000000C
	ds_read_b64 v[98:99], v12 offset:5376                      // 000000005780: D8EC1500 6200000C
	ds_read_b64 v[100:101], v12 offset:6272                    // 000000005788: D8EC1880 6400000C
	ds_read_b64 v[102:103], v12 offset:6400                    // 000000005790: D8EC1900 6600000C
	ds_read_b64 v[104:105], v12 offset:7296                    // 000000005798: D8EC1C80 6800000C
	ds_read_b64 v[106:107], v12 offset:7424                    // 0000000057A0: D8EC1D00 6A00000C
	ds_read_b64 v[108:109], v12 offset:8320                    // 0000000057A8: D8EC2080 6C00000C
	ds_read_b64 v[110:111], v12 offset:8448                    // 0000000057B0: D8EC2100 6E00000C
	s_waitcnt lgkmcnt(0)                                       // 0000000057B8: BF8CC07F
	v_mov_b32_dpp v112, v96 row_shl:8 row_mask:0xf bank_mask:0xf bound_ctrl:1// 0000000057BC: 7EE002FA FF090860
	v_and_b32_e32 v96, v96, v9                                 // 0000000057C4: 26C01360
	v_mov_b32_dpp v113, v97 row_shl:8 row_mask:0xf bank_mask:0xf bound_ctrl:1// 0000000057C8: 7EE202FA FF090861
	v_and_b32_e32 v97, v97, v9                                 // 0000000057D0: 26C21361
	v_mov_b32_dpp v114, v98 row_shl:8 row_mask:0xf bank_mask:0xf bound_ctrl:1// 0000000057D4: 7EE402FA FF090862
	v_and_b32_e32 v98, v98, v9                                 // 0000000057DC: 26C41362
	v_mov_b32_dpp v115, v99 row_shl:8 row_mask:0xf bank_mask:0xf bound_ctrl:1// 0000000057E0: 7EE602FA FF090863
	v_and_b32_e32 v99, v99, v9                                 // 0000000057E8: 26C61363
	v_mov_b32_dpp v116, v100 row_shl:8 row_mask:0xf bank_mask:0xf bound_ctrl:1// 0000000057EC: 7EE802FA FF090864
	v_and_b32_e32 v100, v100, v9                               // 0000000057F4: 26C81364
	v_mov_b32_dpp v117, v101 row_shl:8 row_mask:0xf bank_mask:0xf bound_ctrl:1// 0000000057F8: 7EEA02FA FF090865
	v_and_b32_e32 v101, v101, v9                               // 000000005800: 26CA1365
	v_mov_b32_dpp v118, v102 row_shl:8 row_mask:0xf bank_mask:0xf bound_ctrl:1// 000000005804: 7EEC02FA FF090866
	v_and_b32_e32 v102, v102, v9                               // 00000000580C: 26CC1366
	v_mov_b32_dpp v119, v103 row_shl:8 row_mask:0xf bank_mask:0xf bound_ctrl:1// 000000005810: 7EEE02FA FF090867
	v_and_b32_e32 v103, v103, v9                               // 000000005818: 26CE1367
	v_mov_b32_dpp v120, v104 row_shl:8 row_mask:0xf bank_mask:0xf bound_ctrl:1// 00000000581C: 7EF002FA FF090868
	v_and_b32_e32 v104, v104, v9                               // 000000005824: 26D01368
	v_mov_b32_dpp v121, v105 row_shl:8 row_mask:0xf bank_mask:0xf bound_ctrl:1// 000000005828: 7EF202FA FF090869
	v_and_b32_e32 v105, v105, v9                               // 000000005830: 26D21369
	v_mov_b32_dpp v122, v106 row_shl:8 row_mask:0xf bank_mask:0xf bound_ctrl:1// 000000005834: 7EF402FA FF09086A
	v_and_b32_e32 v106, v106, v9                               // 00000000583C: 26D4136A
	v_mov_b32_dpp v123, v107 row_shl:8 row_mask:0xf bank_mask:0xf bound_ctrl:1// 000000005840: 7EF602FA FF09086B
	v_and_b32_e32 v107, v107, v9                               // 000000005848: 26D6136B
	v_mov_b32_dpp v124, v108 row_shl:8 row_mask:0xf bank_mask:0xf bound_ctrl:1// 00000000584C: 7EF802FA FF09086C
	v_and_b32_e32 v108, v108, v9                               // 000000005854: 26D8136C
	v_mov_b32_dpp v125, v109 row_shl:8 row_mask:0xf bank_mask:0xf bound_ctrl:1// 000000005858: 7EFA02FA FF09086D
	v_and_b32_e32 v109, v109, v9                               // 000000005860: 26DA136D
	v_mov_b32_dpp v126, v110 row_shl:8 row_mask:0xf bank_mask:0xf bound_ctrl:1// 000000005864: 7EFC02FA FF09086E
	v_and_b32_e32 v110, v110, v9                               // 00000000586C: 26DC136E
	v_mov_b32_dpp v127, v111 row_shl:8 row_mask:0xf bank_mask:0xf bound_ctrl:1// 000000005870: 7EFE02FA FF09086F
	v_and_b32_e32 v111, v111, v9                               // 000000005878: 26DE136F
	v_mul_f32_e32 v128, v49, v128                              // 00000000587C: 0B010131
	v_mul_f32_e32 v129, v49, v129                              // 000000005880: 0B030331
	v_mul_f32_e32 v130, v49, v130                              // 000000005884: 0B050531
	v_mul_f32_e32 v131, v49, v131                              // 000000005888: 0B070731
	v_mul_f32_e32 v132, v49, v132                              // 00000000588C: 0B090931
	v_mul_f32_e32 v133, v49, v133                              // 000000005890: 0B0B0B31
	v_mul_f32_e32 v134, v49, v134                              // 000000005894: 0B0D0D31
	v_mul_f32_e32 v135, v49, v135                              // 000000005898: 0B0F0F31
	s_waitcnt vmcnt(0)                                         // 00000000589C: BF8C0F70
	s_barrier                                                  // 0000000058A0: BF8A0000
	v_mfma_f32_16x16x16_f16 v[128:131], a[192:193], v[96:97], v[128:131]// 0000000058A4: D3CD0080 0E02C1C0
	v_mfma_f32_16x16x16_f16 v[128:131], a[194:195], v[98:99], v[128:131]// 0000000058AC: D3CD0080 0E02C5C2
	v_mfma_f32_16x16x16_f16 v[128:131], a[196:197], v[100:101], v[128:131]// 0000000058B4: D3CD0080 0E02C9C4
	v_mfma_f32_16x16x16_f16 v[128:131], a[198:199], v[102:103], v[128:131]// 0000000058BC: D3CD0080 0E02CDC6
	v_mfma_f32_16x16x16_f16 v[128:131], a[200:201], v[104:105], v[128:131]// 0000000058C4: D3CD0080 0E02D1C8
	v_mfma_f32_16x16x16_f16 v[128:131], a[202:203], v[106:107], v[128:131]// 0000000058CC: D3CD0080 0E02D5CA
	v_mfma_f32_16x16x16_f16 v[128:131], a[204:205], v[108:109], v[128:131]// 0000000058D4: D3CD0080 0E02D9CC
	v_mfma_f32_16x16x16_f16 v[128:131], a[206:207], v[110:111], v[128:131]// 0000000058DC: D3CD0080 0E02DDCE
	v_mfma_f32_16x16x16_f16 v[128:131], a[208:209], v[112:113], v[128:131]// 0000000058E4: D3CD0080 0E02E1D0
	v_mfma_f32_16x16x16_f16 v[128:131], a[210:211], v[114:115], v[128:131]// 0000000058EC: D3CD0080 0E02E5D2
	v_mfma_f32_16x16x16_f16 v[128:131], a[212:213], v[116:117], v[128:131]// 0000000058F4: D3CD0080 0E02E9D4
	v_mfma_f32_16x16x16_f16 v[128:131], a[214:215], v[118:119], v[128:131]// 0000000058FC: D3CD0080 0E02EDD6
	v_mfma_f32_16x16x16_f16 v[128:131], a[216:217], v[120:121], v[128:131]// 000000005904: D3CD0080 0E02F1D8
	v_mfma_f32_16x16x16_f16 v[128:131], a[218:219], v[122:123], v[128:131]// 00000000590C: D3CD0080 0E02F5DA
	v_mfma_f32_16x16x16_f16 v[128:131], a[220:221], v[124:125], v[128:131]// 000000005914: D3CD0080 0E02F9DC
	v_mfma_f32_16x16x16_f16 v[128:131], a[222:223], v[126:127], v[128:131]// 00000000591C: D3CD0080 0E02FDDE
	v_mfma_f32_16x16x16_f16 v[132:135], a[224:225], v[96:97], v[132:135]// 000000005924: D3CD0084 0E12C1E0
	v_mfma_f32_16x16x16_f16 v[132:135], a[226:227], v[98:99], v[132:135]// 00000000592C: D3CD0084 0E12C5E2
	v_mfma_f32_16x16x16_f16 v[132:135], a[228:229], v[100:101], v[132:135]// 000000005934: D3CD0084 0E12C9E4
	v_mfma_f32_16x16x16_f16 v[132:135], a[230:231], v[102:103], v[132:135]// 00000000593C: D3CD0084 0E12CDE6
	v_mfma_f32_16x16x16_f16 v[132:135], a[232:233], v[104:105], v[132:135]// 000000005944: D3CD0084 0E12D1E8
	v_mfma_f32_16x16x16_f16 v[132:135], a[234:235], v[106:107], v[132:135]// 00000000594C: D3CD0084 0E12D5EA
	v_mfma_f32_16x16x16_f16 v[132:135], a[236:237], v[108:109], v[132:135]// 000000005954: D3CD0084 0E12D9EC
	v_mfma_f32_16x16x16_f16 v[132:135], a[238:239], v[110:111], v[132:135]// 00000000595C: D3CD0084 0E12DDEE
	v_mfma_f32_16x16x16_f16 v[132:135], a[240:241], v[112:113], v[132:135]// 000000005964: D3CD0084 0E12E1F0
	v_mfma_f32_16x16x16_f16 v[132:135], a[242:243], v[114:115], v[132:135]// 00000000596C: D3CD0084 0E12E5F2
	v_mfma_f32_16x16x16_f16 v[132:135], a[244:245], v[116:117], v[132:135]// 000000005974: D3CD0084 0E12E9F4
	v_mfma_f32_16x16x16_f16 v[132:135], a[246:247], v[118:119], v[132:135]// 00000000597C: D3CD0084 0E12EDF6
	v_mfma_f32_16x16x16_f16 v[132:135], a[248:249], v[120:121], v[132:135]// 000000005984: D3CD0084 0E12F1F8
	v_mfma_f32_16x16x16_f16 v[132:135], a[250:251], v[122:123], v[132:135]// 00000000598C: D3CD0084 0E12F5FA
	v_mfma_f32_16x16x16_f16 v[132:135], a[252:253], v[124:125], v[132:135]// 000000005994: D3CD0084 0E12F9FC
	v_mfma_f32_16x16x16_f16 v[132:135], a[254:255], v[126:127], v[132:135]// 00000000599C: D3CD0084 0E12FDFE
	s_nop 8                                                    // 0000000059A4: BF800008
	s_branch label_0DEC                                        // 0000000059A8: BF820000

00000000000059ac <label_0DEC>:
	ds_write_b32 v11, v42 offset:4224                          // 0000000059AC: D81A1080 00002A0B
	s_waitcnt lgkmcnt(0)                                       // 0000000059B4: BF8CC07F
	s_barrier                                                  // 0000000059B8: BF8A0000
	ds_read_b32 v64, v10 offset:4224                           // 0000000059BC: D86C1080 4000000A
	ds_read_b32 v65, v10 offset:4288                           // 0000000059C4: D86C10C0 4100000A
	ds_read_b32 v66, v10 offset:4352                           // 0000000059CC: D86C1100 4200000A
	ds_read_b32 v67, v10 offset:4416                           // 0000000059D4: D86C1140 4300000A
	ds_read_b32 v68, v10 offset:4480                           // 0000000059DC: D86C1180 4400000A
	ds_read_b32 v69, v10 offset:4544                           // 0000000059E4: D86C11C0 4500000A
	ds_read_b32 v70, v10 offset:4608                           // 0000000059EC: D86C1200 4600000A
	ds_read_b32 v71, v10 offset:4672                           // 0000000059F4: D86C1240 4700000A
	ds_read_b32 v72, v10 offset:4736                           // 0000000059FC: D86C1280 4800000A
	ds_read_b32 v73, v10 offset:4800                           // 000000005A04: D86C12C0 4900000A
	ds_read_b32 v74, v10 offset:4864                           // 000000005A0C: D86C1300 4A00000A
	ds_read_b32 v75, v10 offset:4928                           // 000000005A14: D86C1340 4B00000A
	ds_read_b32 v76, v10 offset:4992                           // 000000005A1C: D86C1380 4C00000A
	ds_read_b32 v77, v10 offset:5056                           // 000000005A24: D86C13C0 4D00000A
	ds_read_b32 v78, v10 offset:5120                           // 000000005A2C: D86C1400 4E00000A
	ds_read_b32 v79, v10 offset:5184                           // 000000005A34: D86C1440 4F00000A
	s_waitcnt lgkmcnt(0)                                       // 000000005A3C: BF8CC07F
	v_mov_b32_e32 v42, 0                                       // 000000005A40: 7E540280
	v_add_f32_e32 v42, v64, v42                                // 000000005A44: 02545540
	v_add_f32_e32 v42, v65, v42                                // 000000005A48: 02545541
	v_add_f32_e32 v42, v66, v42                                // 000000005A4C: 02545542
	v_add_f32_e32 v42, v67, v42                                // 000000005A50: 02545543
	v_add_f32_e32 v42, v68, v42                                // 000000005A54: 02545544
	v_add_f32_e32 v42, v69, v42                                // 000000005A58: 02545545
	v_add_f32_e32 v42, v70, v42                                // 000000005A5C: 02545546
	v_add_f32_e32 v42, v71, v42                                // 000000005A60: 02545547
	v_add_f32_e32 v42, v72, v42                                // 000000005A64: 02545548
	v_add_f32_e32 v42, v73, v42                                // 000000005A68: 02545549
	v_add_f32_e32 v42, v74, v42                                // 000000005A6C: 0254554A
	v_add_f32_e32 v42, v75, v42                                // 000000005A70: 0254554B
	v_add_f32_e32 v42, v76, v42                                // 000000005A74: 0254554C
	v_add_f32_e32 v42, v77, v42                                // 000000005A78: 0254554D
	v_add_f32_e32 v42, v78, v42                                // 000000005A7C: 0254554E
	v_add_f32_e32 v42, v79, v42                                // 000000005A80: 0254554F
	s_nop 1                                                    // 000000005A84: BF800001
	v_mov_b32_dpp v38, v42 row_ror:8 row_mask:0xf bank_mask:0xf// 000000005A88: 7E4C02FA FF01282A
	v_add_f32_e32 v42, v42, v38                                // 000000005A90: 02544D2A
	v_rcp_f32_e32 v42, v42                                     // 000000005A94: 7E54452A
	s_nop 1                                                    // 000000005A98: BF800001
	v_mul_f32_e32 v128, v42, v128                              // 000000005A9C: 0B01012A
	v_mul_f32_e32 v129, v42, v129                              // 000000005AA0: 0B03032A
	v_mul_f32_e32 v130, v42, v130                              // 000000005AA4: 0B05052A
	v_mul_f32_e32 v131, v42, v131                              // 000000005AA8: 0B07072A
	v_mul_f32_e32 v132, v42, v132                              // 000000005AAC: 0B09092A
	v_mul_f32_e32 v133, v42, v133                              // 000000005AB0: 0B0B0B2A
	v_mul_f32_e32 v134, v42, v134                              // 000000005AB4: 0B0D0D2A
	v_mul_f32_e32 v135, v42, v135                              // 000000005AB8: 0B0F0F2A
	v_cvt_pkrtz_f16_f32 v38, v128, v129                        // 000000005ABC: D2960026 00030380
	v_mov_b32_e32 v128, v38                                    // 000000005AC4: 7F000326
	v_cvt_pkrtz_f16_f32 v38, v130, v131                        // 000000005AC8: D2960026 00030782
	v_mov_b32_e32 v129, v38                                    // 000000005AD0: 7F020326
	v_cvt_pkrtz_f16_f32 v38, v132, v133                        // 000000005AD4: D2960026 00030B84
	v_mov_b32_e32 v130, v38                                    // 000000005ADC: 7F040326
	v_cvt_pkrtz_f16_f32 v38, v134, v135                        // 000000005AE0: D2960026 00030F86
	v_mov_b32_e32 v131, v38                                    // 000000005AE8: 7F060326
	v_lshrrev_b32_e32 v38, 4, v0                               // 000000005AEC: 204C0084
	v_mul_i32_i24_e32 v5, 34, v38                              // 000000005AF0: 0C0A4CA2
	v_and_b32_e32 v38, 15, v0                                  // 000000005AF4: 264C008F
	v_mul_i32_i24_e32 v39, 2, v38                              // 000000005AF8: 0C4E4C82
	v_add_u32_e32 v5, v39, v5                                  // 000000005AFC: 680A0B27
	s_mul_i32 s60, s7, 0x88                                    // 000000005B00: 923CFF07 00000088
	v_add_u32_e32 v5, s60, v5                                  // 000000005B08: 680A0A3C
	v_lshlrev_b32_e32 v5, 2, v5                                // 000000005B0C: 240A0A82
	ds_write_b64 v5, v[128:129] offset:13440                   // 000000005B10: D89A3480 00008005
	ds_write_b64 v5, v[130:131] offset:15616                   // 000000005B18: D89A3D00 00008205
	v_lshrrev_b32_e32 v38, 1, v0                               // 000000005B20: 204C0081
	v_mul_i32_i24_e32 v5, 34, v38                              // 000000005B24: 0C0A4CA2
	v_and_b32_e32 v39, 1, v0                                   // 000000005B28: 264E0081
	v_add_u32_e32 v5, v39, v5                                  // 000000005B2C: 680A0B27
	s_mul_i32 s60, s7, 2                                       // 000000005B30: 923C8207
	v_add_u32_e32 v5, s60, v5                                  // 000000005B34: 680A0A3C
	v_lshlrev_b32_e32 v5, 2, v5                                // 000000005B38: 240A0A82
	s_waitcnt lgkmcnt(0)                                       // 000000005B3C: BF8CC07F
	s_barrier                                                  // 000000005B40: BF8A0000
	ds_read_b32 v128, v5 offset:13440                          // 000000005B44: D86C3480 80000005
	ds_read_b32 v129, v5 offset:13472                          // 000000005B4C: D86C34A0 81000005
	s_waitcnt lgkmcnt(0)                                       // 000000005B54: BF8CC07F
	buffer_store_dword v128, v8, s[8:11], 0 offen              // 000000005B58: E0701000 80028008
	buffer_store_dword v129, v8, s[8:11], 0 offen offset:1024  // 000000005B60: E0701400 80028108
	s_waitcnt vmcnt(0) expcnt(0) lgkmcnt(0)                    // 000000005B68: BF8C0000
	s_endpgm                                                   // 000000005B6C: BF810000
